;; amdgpu-corpus repo=ROCm/rocFFT kind=compiled arch=gfx1030 opt=O3
	.text
	.amdgcn_target "amdgcn-amd-amdhsa--gfx1030"
	.amdhsa_code_object_version 6
	.protected	bluestein_single_fwd_len1408_dim1_dp_op_CI_CI ; -- Begin function bluestein_single_fwd_len1408_dim1_dp_op_CI_CI
	.globl	bluestein_single_fwd_len1408_dim1_dp_op_CI_CI
	.p2align	8
	.type	bluestein_single_fwd_len1408_dim1_dp_op_CI_CI,@function
bluestein_single_fwd_len1408_dim1_dp_op_CI_CI: ; @bluestein_single_fwd_len1408_dim1_dp_op_CI_CI
; %bb.0:
	s_load_dwordx4 s[12:15], s[4:5], 0x28
	v_mul_u32_u24_e32 v1, 0x175, v0
	s_mov_b64 s[42:43], s[2:3]
	s_mov_b64 s[40:41], s[0:1]
	v_mov_b32_e32 v4, 0
	s_add_u32 s40, s40, s7
	v_lshrrev_b32_e32 v1, 16, v1
	s_addc_u32 s41, s41, 0
	s_mov_b32 s0, exec_lo
	v_add_nc_u32_e32 v3, s6, v1
	s_waitcnt lgkmcnt(0)
	v_cmpx_gt_u64_e64 s[12:13], v[3:4]
	s_cbranch_execz .LBB0_10
; %bb.1:
	s_clause 0x1
	s_load_dwordx4 s[8:11], s[4:5], 0x18
	s_load_dwordx4 s[0:3], s[4:5], 0x0
	v_mul_lo_u16 v1, 0xb0, v1
	v_mov_b32_e32 v15, v3
	s_load_dwordx2 s[4:5], s[4:5], 0x38
                                        ; implicit-def: $vgpr108_vgpr109
                                        ; implicit-def: $vgpr112_vgpr113
                                        ; implicit-def: $vgpr116_vgpr117
	v_sub_nc_u16 v0, v0, v1
	v_and_b32_e32 v16, 0xffff, v0
	v_lshlrev_b32_e32 v2, 4, v16
	s_waitcnt lgkmcnt(0)
	s_load_dwordx4 s[16:19], s[8:9], 0x0
	global_load_dwordx4 v[11:14], v2, s[0:1]
	v_add_co_u32 v255, s6, s0, v2
	v_add_co_ci_u32_e64 v132, null, s1, 0, s6
	v_add_co_u32 v4, vcc_lo, 0x2800, v255
	v_add_co_ci_u32_e32 v5, vcc_lo, 0, v132, vcc_lo
	v_add_co_u32 v6, vcc_lo, 0x800, v255
	v_add_co_ci_u32_e32 v7, vcc_lo, 0, v132, vcc_lo
	v_add_co_u32 v8, vcc_lo, 0x3000, v255
	v_add_co_ci_u32_e32 v9, vcc_lo, 0, v132, vcc_lo
	s_waitcnt lgkmcnt(0)
	v_mad_u64_u32 v[24:25], null, s16, v16, 0
	buffer_store_dword v15, off, s[40:43], 0 offset:16 ; 4-byte Folded Spill
	buffer_store_dword v16, off, s[40:43], 0 offset:20 ; 4-byte Folded Spill
	v_mad_u64_u32 v[20:21], null, s18, v3, 0
	v_add_co_u32 v22, vcc_lo, 0x1000, v255
	v_add_co_ci_u32_e32 v23, vcc_lo, 0, v132, vcc_lo
	v_mov_b32_e32 v10, v25
	v_add_co_u32 v26, vcc_lo, 0x4000, v255
	v_mov_b32_e32 v1, v21
	v_add_co_ci_u32_e32 v27, vcc_lo, 0, v132, vcc_lo
	v_add_co_u32 v28, vcc_lo, 0x2000, v255
	v_mad_u64_u32 v[30:31], null, s19, v3, v[1:2]
	v_add_co_ci_u32_e32 v29, vcc_lo, 0, v132, vcc_lo
	v_add_co_u32 v60, vcc_lo, 0x4800, v255
	v_add_co_ci_u32_e32 v61, vcc_lo, 0, v132, vcc_lo
	v_mov_b32_e32 v21, v30
	s_clause 0x3
	global_load_dwordx4 v[100:103], v[4:5], off offset:1024
	global_load_dwordx4 v[104:107], v[6:7], off offset:768
	;; [unrolled: 1-line block ×4, first 2 shown]
	s_mul_i32 s0, s17, 0x2c00
	s_mul_hi_u32 s1, s16, 0x2c00
	v_lshlrev_b64 v[20:21], 4, v[20:21]
	s_mul_i32 s6, s16, 0x2c00
	s_add_i32 s1, s1, s0
	s_mul_hi_u32 s8, s16, 0xffffdf00
	s_mul_i32 s7, s17, 0xffffdf00
	s_mul_i32 s9, s16, 0xffffdf00
	v_add_co_u32 v1, vcc_lo, s14, v20
	v_add_co_ci_u32_e32 v3, vcc_lo, s15, v21, vcc_lo
	s_sub_i32 s0, s8, s16
	global_load_dwordx4 v[17:20], v[26:27], off offset:512
	s_add_i32 s0, s0, s7
	s_waitcnt vmcnt(5)
	v_mad_u64_u32 v[31:32], null, s17, v16, v[10:11]
	v_mov_b32_e32 v25, v31
	v_lshlrev_b64 v[22:23], 4, v[24:25]
	v_add_co_u32 v24, vcc_lo, v1, v22
	v_add_co_ci_u32_e32 v25, vcc_lo, v3, v23, vcc_lo
	v_add_co_u32 v30, vcc_lo, v24, s6
	v_add_co_ci_u32_e32 v31, vcc_lo, s1, v25, vcc_lo
	s_clause 0x1
	global_load_dwordx4 v[32:35], v[24:25], off
	global_load_dwordx4 v[36:39], v[30:31], off
	v_add_co_u32 v40, vcc_lo, v30, s9
	v_add_co_ci_u32_e32 v41, vcc_lo, s0, v31, vcc_lo
	v_add_co_u32 v26, vcc_lo, v40, s6
	v_add_co_ci_u32_e32 v27, vcc_lo, s1, v41, vcc_lo
	global_load_dwordx4 v[40:43], v[40:41], off
	v_add_co_u32 v24, vcc_lo, v26, s9
	v_add_co_ci_u32_e32 v25, vcc_lo, s0, v27, vcc_lo
	global_load_dwordx4 v[44:47], v[26:27], off
	v_add_co_u32 v30, vcc_lo, v24, s6
	global_load_dwordx4 v[48:51], v[24:25], off
	v_add_co_ci_u32_e32 v31, vcc_lo, s1, v25, vcc_lo
	v_add_co_u32 v56, vcc_lo, v30, s9
	v_mov_b32_e32 v27, v16
	v_add_co_ci_u32_e32 v57, vcc_lo, s0, v31, vcc_lo
	v_add_co_u32 v62, vcc_lo, v56, s6
	v_lshlrev_b32_e32 v1, 1, v27
	v_add_co_ci_u32_e32 v63, vcc_lo, s1, v57, vcc_lo
	global_load_dwordx4 v[52:55], v[30:31], off
	global_load_dwordx4 v[21:24], v[28:29], off offset:256
	global_load_dwordx4 v[56:59], v[56:57], off
	global_load_dwordx4 v[28:31], v[60:61], off offset:1280
	global_load_dwordx4 v[60:63], v[62:63], off
	v_and_b32_e32 v3, 1, v27
	v_cmp_gt_u16_e32 vcc_lo, 0x80, v0
	s_waitcnt vmcnt(9)
	v_mul_f64 v[64:65], v[34:35], v[13:14]
	s_waitcnt vmcnt(8)
	v_mul_f64 v[68:69], v[38:39], v[102:103]
	v_mul_f64 v[66:67], v[32:33], v[13:14]
	;; [unrolled: 1-line block ×3, first 2 shown]
	s_waitcnt vmcnt(7)
	v_mul_f64 v[72:73], v[42:43], v[106:107]
	v_mul_f64 v[74:75], v[40:41], v[106:107]
	s_waitcnt vmcnt(6)
	v_mul_f64 v[76:77], v[46:47], v[98:99]
	v_mul_f64 v[78:79], v[44:45], v[98:99]
	s_waitcnt vmcnt(5)
	v_mul_f64 v[80:81], v[50:51], v[6:7]
	v_mul_f64 v[82:83], v[48:49], v[6:7]
	v_fma_f64 v[32:33], v[32:33], v[11:12], v[64:65]
	buffer_store_dword v11, off, s[40:43], 0 ; 4-byte Folded Spill
	buffer_store_dword v12, off, s[40:43], 0 offset:4 ; 4-byte Folded Spill
	buffer_store_dword v13, off, s[40:43], 0 offset:8 ; 4-byte Folded Spill
	;; [unrolled: 1-line block ×3, first 2 shown]
	v_fma_f64 v[36:37], v[36:37], v[100:101], v[68:69]
	buffer_store_dword v100, off, s[40:43], 0 offset:56 ; 4-byte Folded Spill
	buffer_store_dword v101, off, s[40:43], 0 offset:60 ; 4-byte Folded Spill
	buffer_store_dword v102, off, s[40:43], 0 offset:64 ; 4-byte Folded Spill
	buffer_store_dword v103, off, s[40:43], 0 offset:68 ; 4-byte Folded Spill
	s_waitcnt vmcnt(4)
	v_mul_f64 v[84:85], v[54:55], v[19:20]
	v_mul_f64 v[86:87], v[52:53], v[19:20]
	s_waitcnt vmcnt(2)
	v_mul_f64 v[88:89], v[58:59], v[23:24]
	v_mul_f64 v[90:91], v[56:57], v[23:24]
	s_waitcnt vmcnt(0)
	v_mul_f64 v[92:93], v[62:63], v[30:31]
	v_fma_f64 v[40:41], v[40:41], v[104:105], v[72:73]
	buffer_store_dword v104, off, s[40:43], 0 offset:72 ; 4-byte Folded Spill
	buffer_store_dword v105, off, s[40:43], 0 offset:76 ; 4-byte Folded Spill
	;; [unrolled: 1-line block ×4, first 2 shown]
	v_mul_f64 v[94:95], v[60:61], v[30:31]
	v_fma_f64 v[44:45], v[44:45], v[96:97], v[76:77]
	buffer_store_dword v96, off, s[40:43], 0 offset:40 ; 4-byte Folded Spill
	buffer_store_dword v97, off, s[40:43], 0 offset:44 ; 4-byte Folded Spill
	;; [unrolled: 1-line block ×4, first 2 shown]
	v_fma_f64 v[48:49], v[48:49], v[4:5], v[80:81]
	buffer_store_dword v4, off, s[40:43], 0 offset:24 ; 4-byte Folded Spill
	buffer_store_dword v5, off, s[40:43], 0 offset:28 ; 4-byte Folded Spill
	;; [unrolled: 1-line block ×4, first 2 shown]
	v_lshlrev_b32_e32 v6, 5, v27
	v_fma_f64 v[52:53], v[52:53], v[17:18], v[84:85]
	buffer_store_dword v17, off, s[40:43], 0 offset:88 ; 4-byte Folded Spill
	buffer_store_dword v18, off, s[40:43], 0 offset:92 ; 4-byte Folded Spill
	buffer_store_dword v19, off, s[40:43], 0 offset:96 ; 4-byte Folded Spill
	buffer_store_dword v20, off, s[40:43], 0 offset:100 ; 4-byte Folded Spill
	v_fma_f64 v[56:57], v[56:57], v[21:22], v[88:89]
	buffer_store_dword v21, off, s[40:43], 0 offset:104 ; 4-byte Folded Spill
	buffer_store_dword v22, off, s[40:43], 0 offset:108 ; 4-byte Folded Spill
	;; [unrolled: 1-line block ×4, first 2 shown]
	v_fma_f64 v[60:61], v[60:61], v[28:29], v[92:93]
	s_load_dwordx4 s[8:11], s[10:11], 0x0
	v_fma_f64 v[62:63], v[62:63], v[28:29], -v[94:95]
	v_fma_f64 v[34:35], v[34:35], v[11:12], -v[66:67]
	;; [unrolled: 1-line block ×6, first 2 shown]
	v_lshlrev_b32_e32 v5, 4, v3
	v_lshlrev_b32_e32 v4, 4, v1
	v_fma_f64 v[54:55], v[54:55], v[17:18], -v[86:87]
	v_fma_f64 v[58:59], v[58:59], v[21:22], -v[90:91]
	ds_write_b128 v2, v[32:35]
	ds_write_b128 v2, v[36:39] offset:11264
	ds_write_b128 v2, v[40:43] offset:2816
	;; [unrolled: 1-line block ×7, first 2 shown]
	s_waitcnt lgkmcnt(0)
	s_waitcnt_vscnt null, 0x0
	s_barrier
	buffer_gl0_inv
	ds_read_b128 v[32:35], v2 offset:11264
	ds_read_b128 v[36:39], v2
	ds_read_b128 v[40:43], v2 offset:2816
	ds_read_b128 v[44:47], v2 offset:14080
	;; [unrolled: 1-line block ×6, first 2 shown]
	s_waitcnt lgkmcnt(0)
	s_barrier
	buffer_gl0_inv
	v_add_f64 v[32:33], v[36:37], -v[32:33]
	v_add_f64 v[34:35], v[38:39], -v[34:35]
	;; [unrolled: 1-line block ×8, first 2 shown]
	v_add_nc_u32_e32 v49, 0xb0, v27
	v_add_nc_u32_e32 v50, 0x210, v27
	;; [unrolled: 1-line block ×3, first 2 shown]
	v_lshlrev_b32_e32 v9, 5, v49
	v_lshlrev_b32_e32 v7, 5, v50
	;; [unrolled: 1-line block ×3, first 2 shown]
	v_fma_f64 v[36:37], v[36:37], 2.0, -v[32:33]
	v_fma_f64 v[38:39], v[38:39], 2.0, -v[34:35]
	;; [unrolled: 1-line block ×8, first 2 shown]
	ds_write_b128 v6, v[32:35] offset:16
	ds_write_b128 v6, v[36:39]
	ds_write_b128 v6, v[40:43] offset:5632
	buffer_store_dword v9, off, s[40:43], 0 offset:128 ; 4-byte Folded Spill
	ds_write_b128 v9, v[44:47] offset:16
	ds_write_b128 v4, v[51:54] offset:11264
	buffer_store_dword v8, off, s[40:43], 0 offset:124 ; 4-byte Folded Spill
	ds_write_b128 v8, v[64:67] offset:16
	;; [unrolled: 3-line block ×3, first 2 shown]
	s_waitcnt lgkmcnt(0)
	s_waitcnt_vscnt null, 0x0
	s_barrier
	buffer_gl0_inv
	global_load_dwordx4 v[32:35], v5, s[2:3]
	ds_read_b128 v[36:39], v2 offset:11264
	ds_read_b128 v[40:43], v2 offset:14080
	ds_read_b128 v[44:47], v2 offset:16896
	ds_read_b128 v[51:54], v2 offset:19712
	ds_read_b128 v[55:58], v2
	ds_read_b128 v[59:62], v2 offset:2816
	v_and_b32_e32 v4, 3, v27
	v_and_or_b32 v5, 0x1fc, v1, v3
	v_and_or_b32 v7, 0x7fc, v48, v3
	v_lshlrev_b32_e32 v8, 4, v4
	v_lshlrev_b32_e32 v9, 4, v5
	;; [unrolled: 1-line block ×3, first 2 shown]
	v_and_or_b32 v7, 0x7f8, v48, v4
	s_waitcnt vmcnt(0) lgkmcnt(5)
	v_mul_f64 v[63:64], v[38:39], v[34:35]
	v_mul_f64 v[65:66], v[36:37], v[34:35]
	s_waitcnt lgkmcnt(4)
	v_mul_f64 v[67:68], v[42:43], v[34:35]
	v_mul_f64 v[69:70], v[40:41], v[34:35]
	s_waitcnt lgkmcnt(3)
	;; [unrolled: 3-line block ×3, first 2 shown]
	v_mul_f64 v[75:76], v[53:54], v[34:35]
	v_mul_f64 v[77:78], v[51:52], v[34:35]
	v_fma_f64 v[63:64], v[36:37], v[32:33], -v[63:64]
	v_fma_f64 v[65:66], v[38:39], v[32:33], v[65:66]
	v_fma_f64 v[67:68], v[40:41], v[32:33], -v[67:68]
	v_fma_f64 v[69:70], v[42:43], v[32:33], v[69:70]
	;; [unrolled: 2-line block ×4, first 2 shown]
	ds_read_b128 v[36:39], v2 offset:5632
	ds_read_b128 v[40:43], v2 offset:8448
	s_waitcnt lgkmcnt(0)
	s_barrier
	buffer_gl0_inv
	buffer_store_dword v9, off, s[40:43], 0 offset:144 ; 4-byte Folded Spill
	v_add_f64 v[44:45], v[55:56], -v[63:64]
	v_add_f64 v[46:47], v[57:58], -v[65:66]
	;; [unrolled: 1-line block ×8, first 2 shown]
	v_lshlrev_b32_e32 v51, 1, v49
	v_and_or_b32 v6, 0x3fc, v51, v3
	v_lshlrev_b32_e32 v6, 4, v6
	v_fma_f64 v[52:53], v[55:56], 2.0, -v[44:45]
	v_fma_f64 v[54:55], v[57:58], 2.0, -v[46:47]
	;; [unrolled: 1-line block ×4, first 2 shown]
	v_lshlrev_b32_e32 v60, 1, v50
	ds_write_b128 v9, v[44:47] offset:32
	v_fma_f64 v[36:37], v[36:37], 2.0, -v[67:68]
	v_fma_f64 v[38:39], v[38:39], 2.0, -v[69:70]
	;; [unrolled: 1-line block ×4, first 2 shown]
	v_and_or_b32 v3, 0x7fc, v60, v3
	ds_write_b128 v9, v[52:55]
	ds_write_b128 v6, v[56:59]
	v_lshlrev_b32_e32 v3, 4, v3
	buffer_store_dword v6, off, s[40:43], 0 offset:140 ; 4-byte Folded Spill
	ds_write_b128 v6, v[63:66] offset:32
	ds_write_b128 v5, v[36:39]
	buffer_store_dword v5, off, s[40:43], 0 offset:136 ; 4-byte Folded Spill
	ds_write_b128 v5, v[67:70] offset:32
	ds_write_b128 v3, v[40:43]
	buffer_store_dword v3, off, s[40:43], 0 offset:132 ; 4-byte Folded Spill
	ds_write_b128 v3, v[71:74] offset:32
	s_waitcnt lgkmcnt(0)
	s_waitcnt_vscnt null, 0x0
	s_barrier
	buffer_gl0_inv
	global_load_dwordx4 v[36:39], v8, s[2:3] offset:32
	ds_read_b128 v[40:43], v2 offset:11264
	ds_read_b128 v[44:47], v2 offset:14080
	;; [unrolled: 1-line block ×4, first 2 shown]
	ds_read_b128 v[61:64], v2
	ds_read_b128 v[65:68], v2 offset:2816
	v_and_b32_e32 v3, 7, v27
	v_and_or_b32 v5, 0x1f8, v1, v4
	v_and_or_b32 v6, 0x3f8, v51, v4
	v_and_or_b32 v4, 0x7f8, v60, v4
	v_lshlrev_b32_e32 v8, 4, v3
	v_lshlrev_b32_e32 v9, 4, v5
	;; [unrolled: 1-line block ×5, first 2 shown]
	v_and_or_b32 v7, 0x7f0, v48, v3
	s_waitcnt vmcnt(0) lgkmcnt(5)
	v_mul_f64 v[69:70], v[42:43], v[38:39]
	v_mul_f64 v[71:72], v[40:41], v[38:39]
	s_waitcnt lgkmcnt(4)
	v_mul_f64 v[73:74], v[46:47], v[38:39]
	v_mul_f64 v[75:76], v[44:45], v[38:39]
	s_waitcnt lgkmcnt(3)
	;; [unrolled: 3-line block ×3, first 2 shown]
	v_mul_f64 v[81:82], v[58:59], v[38:39]
	v_mul_f64 v[83:84], v[56:57], v[38:39]
	v_fma_f64 v[69:70], v[40:41], v[36:37], -v[69:70]
	v_fma_f64 v[71:72], v[42:43], v[36:37], v[71:72]
	v_fma_f64 v[73:74], v[44:45], v[36:37], -v[73:74]
	v_fma_f64 v[75:76], v[46:47], v[36:37], v[75:76]
	;; [unrolled: 2-line block ×4, first 2 shown]
	ds_read_b128 v[40:43], v2 offset:5632
	ds_read_b128 v[44:47], v2 offset:8448
	s_waitcnt lgkmcnt(0)
	s_barrier
	buffer_gl0_inv
	buffer_store_dword v9, off, s[40:43], 0 offset:160 ; 4-byte Folded Spill
	v_add_f64 v[52:53], v[61:62], -v[69:70]
	v_add_f64 v[54:55], v[63:64], -v[71:72]
	;; [unrolled: 1-line block ×8, first 2 shown]
	v_fma_f64 v[61:62], v[61:62], 2.0, -v[52:53]
	v_fma_f64 v[63:64], v[63:64], 2.0, -v[54:55]
	;; [unrolled: 1-line block ×4, first 2 shown]
	ds_write_b128 v9, v[52:55] offset:64
	ds_write_b128 v9, v[61:64]
	ds_write_b128 v6, v[65:68]
	v_fma_f64 v[40:41], v[40:41], 2.0, -v[69:70]
	v_fma_f64 v[42:43], v[42:43], 2.0, -v[71:72]
	;; [unrolled: 1-line block ×4, first 2 shown]
	buffer_store_dword v6, off, s[40:43], 0 offset:156 ; 4-byte Folded Spill
	ds_write_b128 v6, v[56:59] offset:64
	ds_write_b128 v5, v[40:43]
	buffer_store_dword v5, off, s[40:43], 0 offset:152 ; 4-byte Folded Spill
	ds_write_b128 v5, v[69:72] offset:64
	ds_write_b128 v4, v[44:47]
	buffer_store_dword v4, off, s[40:43], 0 offset:148 ; 4-byte Folded Spill
	ds_write_b128 v4, v[73:76] offset:64
	s_waitcnt lgkmcnt(0)
	s_waitcnt_vscnt null, 0x0
	s_barrier
	buffer_gl0_inv
	global_load_dwordx4 v[40:43], v8, s[2:3] offset:96
	ds_read_b128 v[44:47], v2 offset:11264
	ds_read_b128 v[52:55], v2 offset:14080
	;; [unrolled: 1-line block ×4, first 2 shown]
	ds_read_b128 v[65:68], v2
	ds_read_b128 v[69:72], v2 offset:2816
	v_and_b32_e32 v4, 15, v27
	v_and_or_b32 v5, 0x1f0, v1, v3
	v_and_or_b32 v6, 0x3f0, v51, v3
	v_and_or_b32 v3, 0x7f0, v60, v3
	v_lshlrev_b32_e32 v8, 4, v4
	v_lshlrev_b32_e32 v9, 4, v5
	;; [unrolled: 1-line block ×5, first 2 shown]
	v_and_b32_e32 v7, 31, v50
	s_waitcnt vmcnt(0) lgkmcnt(5)
	v_mul_f64 v[73:74], v[46:47], v[42:43]
	v_mul_f64 v[75:76], v[44:45], v[42:43]
	s_waitcnt lgkmcnt(4)
	v_mul_f64 v[77:78], v[54:55], v[42:43]
	v_mul_f64 v[79:80], v[52:53], v[42:43]
	s_waitcnt lgkmcnt(3)
	v_mul_f64 v[81:82], v[58:59], v[42:43]
	v_mul_f64 v[83:84], v[56:57], v[42:43]
	s_waitcnt lgkmcnt(2)
	v_mul_f64 v[85:86], v[63:64], v[42:43]
	v_mul_f64 v[87:88], v[61:62], v[42:43]
	v_fma_f64 v[73:74], v[44:45], v[40:41], -v[73:74]
	v_fma_f64 v[75:76], v[46:47], v[40:41], v[75:76]
	v_fma_f64 v[77:78], v[52:53], v[40:41], -v[77:78]
	v_fma_f64 v[79:80], v[54:55], v[40:41], v[79:80]
	v_fma_f64 v[81:82], v[56:57], v[40:41], -v[81:82]
	v_fma_f64 v[83:84], v[58:59], v[40:41], v[83:84]
	v_fma_f64 v[85:86], v[61:62], v[40:41], -v[85:86]
	v_fma_f64 v[87:88], v[63:64], v[40:41], v[87:88]
	ds_read_b128 v[44:47], v2 offset:5632
	ds_read_b128 v[52:55], v2 offset:8448
	s_waitcnt lgkmcnt(0)
	s_barrier
	buffer_gl0_inv
	buffer_store_dword v9, off, s[40:43], 0 offset:176 ; 4-byte Folded Spill
	v_add_f64 v[56:57], v[65:66], -v[73:74]
	v_add_f64 v[58:59], v[67:68], -v[75:76]
	;; [unrolled: 1-line block ×8, first 2 shown]
	v_fma_f64 v[65:66], v[65:66], 2.0, -v[56:57]
	v_fma_f64 v[67:68], v[67:68], 2.0, -v[58:59]
	;; [unrolled: 1-line block ×4, first 2 shown]
	ds_write_b128 v9, v[56:59] offset:128
	ds_write_b128 v9, v[65:68]
	ds_write_b128 v6, v[69:72]
	v_fma_f64 v[44:45], v[44:45], 2.0, -v[73:74]
	v_fma_f64 v[46:47], v[46:47], 2.0, -v[75:76]
	;; [unrolled: 1-line block ×4, first 2 shown]
	buffer_store_dword v6, off, s[40:43], 0 offset:172 ; 4-byte Folded Spill
	ds_write_b128 v6, v[61:64] offset:128
	ds_write_b128 v5, v[44:47]
	buffer_store_dword v5, off, s[40:43], 0 offset:168 ; 4-byte Folded Spill
	ds_write_b128 v5, v[73:76] offset:128
	ds_write_b128 v3, v[52:55]
	buffer_store_dword v3, off, s[40:43], 0 offset:164 ; 4-byte Folded Spill
	ds_write_b128 v3, v[77:80] offset:128
	s_waitcnt lgkmcnt(0)
	s_waitcnt_vscnt null, 0x0
	s_barrier
	buffer_gl0_inv
	global_load_dwordx4 v[44:47], v8, s[2:3] offset:224
	ds_read_b128 v[52:55], v2 offset:11264
	ds_read_b128 v[56:59], v2 offset:14080
	;; [unrolled: 1-line block ×4, first 2 shown]
	ds_read_b128 v[69:72], v2
	ds_read_b128 v[73:76], v2 offset:2816
	v_and_b32_e32 v3, 31, v27
	v_and_or_b32 v5, 0x1e0, v1, v4
	v_and_or_b32 v8, 0x3e0, v51, v4
	;; [unrolled: 1-line block ×4, first 2 shown]
	v_lshlrev_b32_e32 v6, 4, v3
	v_lshlrev_b32_e32 v11, 4, v5
	v_lshlrev_b32_e32 v10, 4, v8
	v_lshlrev_b32_e32 v8, 4, v9
	v_lshlrev_b32_e32 v4, 4, v4
	v_lshlrev_b32_e32 v5, 4, v7
	v_and_or_b32 v1, 0x1c0, v1, v3
	v_and_or_b32 v3, 0x7c0, v48, v3
	s_waitcnt vmcnt(0) lgkmcnt(5)
	v_mul_f64 v[77:78], v[54:55], v[46:47]
	v_mul_f64 v[79:80], v[52:53], v[46:47]
	s_waitcnt lgkmcnt(4)
	v_mul_f64 v[81:82], v[58:59], v[46:47]
	v_mul_f64 v[83:84], v[56:57], v[46:47]
	s_waitcnt lgkmcnt(3)
	;; [unrolled: 3-line block ×3, first 2 shown]
	v_mul_f64 v[89:90], v[67:68], v[46:47]
	v_mul_f64 v[91:92], v[65:66], v[46:47]
	v_fma_f64 v[77:78], v[52:53], v[44:45], -v[77:78]
	v_fma_f64 v[79:80], v[54:55], v[44:45], v[79:80]
	v_fma_f64 v[81:82], v[56:57], v[44:45], -v[81:82]
	v_fma_f64 v[83:84], v[58:59], v[44:45], v[83:84]
	;; [unrolled: 2-line block ×4, first 2 shown]
	ds_read_b128 v[52:55], v2 offset:5632
	ds_read_b128 v[56:59], v2 offset:8448
	s_waitcnt lgkmcnt(0)
	s_barrier
	buffer_gl0_inv
	buffer_store_dword v11, off, s[40:43], 0 offset:204 ; 4-byte Folded Spill
	v_add_f64 v[61:62], v[69:70], -v[77:78]
	v_add_f64 v[63:64], v[71:72], -v[79:80]
	;; [unrolled: 1-line block ×8, first 2 shown]
	v_fma_f64 v[69:70], v[69:70], 2.0, -v[61:62]
	v_fma_f64 v[71:72], v[71:72], 2.0, -v[63:64]
	;; [unrolled: 1-line block ×4, first 2 shown]
	ds_write_b128 v11, v[61:64] offset:256
	ds_write_b128 v11, v[69:72]
	ds_write_b128 v10, v[73:76]
	v_fma_f64 v[52:53], v[52:53], 2.0, -v[77:78]
	v_fma_f64 v[54:55], v[54:55], 2.0, -v[79:80]
	;; [unrolled: 1-line block ×4, first 2 shown]
	buffer_store_dword v10, off, s[40:43], 0 offset:196 ; 4-byte Folded Spill
	ds_write_b128 v10, v[65:68] offset:256
	ds_write_b128 v8, v[52:55]
	buffer_store_dword v8, off, s[40:43], 0 offset:188 ; 4-byte Folded Spill
	ds_write_b128 v8, v[77:80] offset:256
	ds_write_b128 v4, v[56:59]
	buffer_store_dword v4, off, s[40:43], 0 offset:180 ; 4-byte Folded Spill
	ds_write_b128 v4, v[81:84] offset:256
	s_waitcnt lgkmcnt(0)
	s_waitcnt_vscnt null, 0x0
	s_barrier
	buffer_gl0_inv
	s_clause 0x2
	global_load_dwordx4 v[56:59], v6, s[2:3] offset:480
	global_load_dwordx4 v[52:55], v5, s[2:3] offset:480
	global_load_dwordx2 v[126:127], v5, s[2:3] offset:488
	v_and_b32_e32 v4, 31, v49
	v_lshlrev_b32_e32 v6, 4, v1
	v_lshlrev_b32_e32 v1, 4, v3
	;; [unrolled: 1-line block ×3, first 2 shown]
	v_and_or_b32 v4, 0x3c0, v51, v4
	global_load_dwordx2 v[124:125], v5, s[2:3] offset:480
	ds_read_b128 v[61:64], v2 offset:11264
	ds_read_b128 v[65:68], v2 offset:14080
	;; [unrolled: 1-line block ×4, first 2 shown]
	ds_read_b128 v[84:87], v2
	ds_read_b128 v[88:91], v2 offset:2816
	v_and_or_b32 v5, 0x7c0, v60, v7
	v_lshlrev_b32_e32 v4, 4, v4
	v_lshlrev_b32_e32 v0, 4, v5
	s_waitcnt vmcnt(3) lgkmcnt(5)
	v_mul_f64 v[49:50], v[63:64], v[58:59]
	v_mul_f64 v[77:78], v[61:62], v[58:59]
	s_waitcnt vmcnt(2) lgkmcnt(4)
	v_mul_f64 v[79:80], v[67:68], v[54:55]
	v_mul_f64 v[81:82], v[65:66], v[54:55]
	s_waitcnt lgkmcnt(3)
	v_mul_f64 v[92:93], v[71:72], v[58:59]
	v_mul_f64 v[94:95], v[69:70], v[58:59]
	s_waitcnt vmcnt(1) lgkmcnt(2)
	v_mul_f64 v[96:97], v[75:76], v[126:127]
	v_mul_f64 v[98:99], v[73:74], v[126:127]
	v_fma_f64 v[49:50], v[61:62], v[56:57], -v[49:50]
	v_fma_f64 v[100:101], v[63:64], v[56:57], v[77:78]
	s_waitcnt vmcnt(0)
	v_fma_f64 v[102:103], v[65:66], v[124:125], -v[79:80]
	v_fma_f64 v[82:83], v[67:68], v[124:125], v[81:82]
	v_fma_f64 v[69:70], v[69:70], v[56:57], -v[92:93]
	v_fma_f64 v[71:72], v[71:72], v[56:57], v[94:95]
	;; [unrolled: 2-line block ×3, first 2 shown]
	ds_read_b128 v[61:64], v2 offset:5632
	ds_read_b128 v[65:68], v2 offset:8448
	s_waitcnt lgkmcnt(0)
	s_barrier
	buffer_gl0_inv
	buffer_store_dword v6, off, s[40:43], 0 offset:208 ; 4-byte Folded Spill
	v_add_f64 v[76:77], v[84:85], -v[49:50]
	v_add_f64 v[78:79], v[86:87], -v[100:101]
	;; [unrolled: 1-line block ×8, first 2 shown]
	v_fma_f64 v[96:97], v[84:85], 2.0, -v[76:77]
	v_fma_f64 v[98:99], v[86:87], 2.0, -v[78:79]
	;; [unrolled: 1-line block ×4, first 2 shown]
	ds_write_b128 v6, v[76:79] offset:512
	ds_write_b128 v6, v[96:99]
	ds_write_b128 v4, v[84:87]
	v_fma_f64 v[88:89], v[61:62], 2.0, -v[100:101]
	v_fma_f64 v[90:91], v[63:64], 2.0, -v[102:103]
	;; [unrolled: 1-line block ×4, first 2 shown]
	buffer_store_dword v4, off, s[40:43], 0 offset:200 ; 4-byte Folded Spill
	ds_write_b128 v4, v[80:83] offset:512
	ds_write_b128 v1, v[88:91]
	buffer_store_dword v1, off, s[40:43], 0 offset:192 ; 4-byte Folded Spill
	ds_write_b128 v1, v[100:103] offset:512
	ds_write_b128 v0, v[104:107]
	buffer_store_dword v0, off, s[40:43], 0 offset:184 ; 4-byte Folded Spill
	ds_write_b128 v0, v[92:95] offset:512
	s_waitcnt lgkmcnt(0)
	s_waitcnt_vscnt null, 0x0
	s_barrier
	buffer_gl0_inv
	s_and_saveexec_b32 s0, vcc_lo
	s_cbranch_execz .LBB0_3
; %bb.2:
	ds_read_b128 v[96:99], v2
	ds_read_b128 v[76:79], v2 offset:2048
	ds_read_b128 v[84:87], v2 offset:4096
	;; [unrolled: 1-line block ×10, first 2 shown]
.LBB0_3:
	s_or_b32 exec_lo, exec_lo, s0
	v_and_b32_e32 v0, 63, v27
	s_mov_b32 s18, 0xf8bb580b
	s_mov_b32 s19, 0xbfe14ced
	;; [unrolled: 1-line block ×4, first 2 shown]
	v_mad_u64_u32 v[0:1], null, 0xa0, v0, s[2:3]
	s_mov_b32 s1, 0x3feaeb8c
	s_mov_b32 s13, 0xbfed1bb4
	;; [unrolled: 1-line block ×6, first 2 shown]
	s_clause 0x4
	global_load_dwordx4 v[48:51], v[0:1], off offset:992
	global_load_dwordx4 v[68:71], v[0:1], off offset:1136
	;; [unrolled: 1-line block ×5, first 2 shown]
	s_mov_b32 s14, 0x640f44db
	s_mov_b32 s15, 0xbfc2375f
	;; [unrolled: 1-line block ×18, first 2 shown]
	s_waitcnt vmcnt(4) lgkmcnt(9)
	v_mul_f64 v[120:121], v[76:77], v[50:51]
	v_mul_f64 v[122:123], v[78:79], v[50:51]
	s_waitcnt vmcnt(3) lgkmcnt(0)
	v_mul_f64 v[128:129], v[116:117], v[70:71]
	v_mul_f64 v[130:131], v[118:119], v[70:71]
	v_fma_f64 v[155:156], v[78:79], v[48:49], v[120:121]
	v_fma_f64 v[153:154], v[76:77], v[48:49], -v[122:123]
	s_waitcnt vmcnt(2)
	v_mul_f64 v[76:77], v[86:87], v[62:63]
	v_mul_f64 v[78:79], v[84:85], v[62:63]
	v_fma_f64 v[118:119], v[118:119], v[68:69], v[128:129]
	v_fma_f64 v[116:117], v[116:117], v[68:69], -v[130:131]
	s_waitcnt vmcnt(1)
	v_mul_f64 v[120:121], v[112:113], v[66:67]
	v_mul_f64 v[122:123], v[114:115], v[66:67]
	v_fma_f64 v[128:129], v[84:85], v[60:61], -v[76:77]
	v_fma_f64 v[130:131], v[86:87], v[60:61], v[78:79]
	s_waitcnt vmcnt(0)
	v_mul_f64 v[84:85], v[82:83], v[74:75]
	v_mul_f64 v[86:87], v[80:81], v[74:75]
	global_load_dwordx4 v[76:79], v[0:1], off offset:1040
	v_fma_f64 v[114:115], v[114:115], v[64:65], v[120:121]
	v_fma_f64 v[112:113], v[112:113], v[64:65], -v[122:123]
	v_add_f64 v[239:240], v[155:156], -v[118:119]
	v_add_f64 v[237:238], v[153:154], v[116:117]
	v_add_f64 v[247:248], v[153:154], -v[116:117]
	v_add_f64 v[245:246], v[155:156], v[118:119]
	v_fma_f64 v[120:121], v[80:81], v[72:73], -v[84:85]
	v_fma_f64 v[122:123], v[82:83], v[72:73], v[86:87]
	s_clause 0x1
	global_load_dwordx4 v[80:83], v[0:1], off offset:1104
	global_load_dwordx4 v[84:87], v[0:1], off offset:1088
	v_add_f64 v[181:182], v[130:131], -v[114:115]
	v_add_f64 v[179:180], v[128:129], v[112:113]
	v_mul_f64 v[241:242], v[239:240], s[18:19]
	v_add_f64 v[191:192], v[128:129], -v[112:113]
	v_mul_f64 v[243:244], v[247:248], s[18:19]
	v_add_f64 v[187:188], v[130:131], v[114:115]
	v_mul_f64 v[249:250], v[239:240], s[12:13]
	v_mul_f64 v[251:252], v[247:248], s[12:13]
	;; [unrolled: 1-line block ×9, first 2 shown]
	v_fma_f64 v[203:204], v[187:188], s[22:23], -v[235:236]
	s_waitcnt vmcnt(1)
	v_mul_f64 v[133:134], v[110:111], v[82:83]
	v_fma_f64 v[133:134], v[108:109], v[80:81], -v[133:134]
	v_mul_f64 v[108:109], v[108:109], v[82:83]
	v_add_f64 v[161:162], v[120:121], v[133:134]
	v_fma_f64 v[135:136], v[110:111], v[80:81], v[108:109]
	v_mul_f64 v[108:109], v[88:89], v[78:79]
	v_add_f64 v[185:186], v[120:121], -v[133:134]
	v_add_f64 v[165:166], v[122:123], -v[135:136]
	v_fma_f64 v[141:142], v[90:91], v[76:77], v[108:109]
	v_mul_f64 v[90:91], v[90:91], v[78:79]
	v_add_f64 v[173:174], v[122:123], v[135:136]
	v_mul_f64 v[211:212], v[185:186], s[16:17]
	v_mul_f64 v[201:202], v[185:186], s[26:27]
	v_fma_f64 v[108:109], v[179:180], s[22:23], v[233:234]
	v_mul_f64 v[231:232], v[185:186], s[30:31]
	v_mul_f64 v[209:210], v[165:166], s[16:17]
	;; [unrolled: 1-line block ×3, first 2 shown]
	v_fma_f64 v[143:144], v[88:89], v[76:77], -v[90:91]
	s_waitcnt vmcnt(0)
	v_mul_f64 v[88:89], v[92:93], v[86:87]
	v_mul_f64 v[223:224], v[165:166], s[30:31]
	v_fma_f64 v[137:138], v[94:95], v[84:85], v[88:89]
	v_mul_f64 v[88:89], v[94:95], v[86:87]
	v_add_f64 v[159:160], v[141:142], -v[137:138]
	v_fma_f64 v[139:140], v[92:93], v[84:85], -v[88:89]
	s_clause 0x1
	global_load_dwordx4 v[88:91], v[0:1], off offset:1056
	global_load_dwordx4 v[92:95], v[0:1], off offset:1072
	v_add_f64 v[169:170], v[141:142], v[137:138]
	s_waitcnt vmcnt(0)
	s_barrier
	buffer_gl0_inv
	v_mul_f64 v[215:216], v[159:160], s[28:29]
	v_add_f64 v[157:158], v[143:144], v[139:140]
	v_add_f64 v[171:172], v[143:144], -v[139:140]
	v_mul_f64 v[193:194], v[159:160], s[36:37]
	v_mul_f64 v[213:214], v[159:160], s[18:19]
	;; [unrolled: 1-line block ×6, first 2 shown]
	v_fma_f64 v[149:150], v[100:101], v[88:89], -v[0:1]
	v_mul_f64 v[0:1], v[100:101], v[90:91]
	v_fma_f64 v[100:101], v[179:180], s[6:7], v[197:198]
	v_fma_f64 v[151:152], v[102:103], v[88:89], v[0:1]
	v_mul_f64 v[0:1], v[106:107], v[94:95]
	v_fma_f64 v[102:103], v[187:188], s[6:7], -v[205:206]
	v_fma_f64 v[145:146], v[104:105], v[92:93], -v[0:1]
	v_mul_f64 v[0:1], v[104:105], v[94:95]
	v_fma_f64 v[104:105], v[179:180], s[20:21], v[219:220]
	v_add_f64 v[163:164], v[149:150], v[145:146]
	v_fma_f64 v[147:148], v[106:107], v[92:93], v[0:1]
	v_fma_f64 v[0:1], v[237:238], s[0:1], v[241:242]
	v_add_f64 v[177:178], v[149:150], -v[145:146]
	v_fma_f64 v[106:107], v[187:188], s[20:21], -v[225:226]
	v_add_f64 v[167:168], v[151:152], -v[147:148]
	v_add_f64 v[0:1], v[96:97], v[0:1]
	v_add_f64 v[175:176], v[151:152], v[147:148]
	v_mul_f64 v[229:230], v[177:178], s[24:25]
	v_mul_f64 v[189:190], v[177:178], s[34:35]
	;; [unrolled: 1-line block ×3, first 2 shown]
	v_add_f64 v[0:1], v[100:101], v[0:1]
	v_fma_f64 v[100:101], v[245:246], s[0:1], -v[243:244]
	v_mul_f64 v[183:184], v[167:168], s[34:35]
	v_add_f64 v[100:101], v[98:99], v[100:101]
	v_add_f64 v[100:101], v[102:103], v[100:101]
	v_fma_f64 v[102:103], v[161:162], s[14:15], v[209:210]
	v_add_f64 v[0:1], v[102:103], v[0:1]
	v_fma_f64 v[102:103], v[173:174], s[14:15], -v[211:212]
	v_add_f64 v[100:101], v[102:103], v[100:101]
	v_fma_f64 v[102:103], v[157:158], s[20:21], v[215:216]
	v_add_f64 v[0:1], v[102:103], v[0:1]
	v_fma_f64 v[102:103], v[169:170], s[20:21], -v[221:222]
	v_add_f64 v[102:103], v[102:103], v[100:101]
	v_fma_f64 v[100:101], v[163:164], s[22:23], v[227:228]
	v_add_f64 v[100:101], v[100:101], v[0:1]
	v_fma_f64 v[0:1], v[175:176], s[22:23], -v[229:230]
	v_add_f64 v[102:103], v[0:1], v[102:103]
	v_fma_f64 v[0:1], v[237:238], s[6:7], v[249:250]
	v_add_f64 v[0:1], v[96:97], v[0:1]
	v_add_f64 v[0:1], v[104:105], v[0:1]
	v_fma_f64 v[104:105], v[245:246], s[6:7], -v[251:252]
	v_add_f64 v[104:105], v[98:99], v[104:105]
	v_add_f64 v[104:105], v[106:107], v[104:105]
	v_fma_f64 v[106:107], v[161:162], s[22:23], v[199:200]
	v_add_f64 v[0:1], v[106:107], v[0:1]
	v_fma_f64 v[106:107], v[173:174], s[22:23], -v[201:202]
	v_add_f64 v[104:105], v[106:107], v[104:105]
	v_fma_f64 v[106:107], v[157:158], s[14:15], v[193:194]
	v_add_f64 v[0:1], v[106:107], v[0:1]
	v_fma_f64 v[106:107], v[169:170], s[14:15], -v[195:196]
	;; [unrolled: 4-line block ×3, first 2 shown]
	v_add_f64 v[106:107], v[0:1], v[106:107]
	v_fma_f64 v[0:1], v[237:238], s[14:15], v[253:254]
	v_add_f64 v[0:1], v[96:97], v[0:1]
	v_add_f64 v[108:109], v[108:109], v[0:1]
	v_mul_f64 v[0:1], v[247:248], s[16:17]
	v_fma_f64 v[110:111], v[245:246], s[14:15], -v[0:1]
	v_add_f64 v[110:111], v[98:99], v[110:111]
	v_add_f64 v[110:111], v[203:204], v[110:111]
	v_fma_f64 v[203:204], v[161:162], s[6:7], v[223:224]
	v_add_f64 v[108:109], v[203:204], v[108:109]
	v_fma_f64 v[203:204], v[173:174], s[6:7], -v[231:232]
	v_add_f64 v[110:111], v[203:204], v[110:111]
	v_fma_f64 v[203:204], v[157:158], s[0:1], v[213:214]
	v_add_f64 v[108:109], v[203:204], v[108:109]
	v_fma_f64 v[203:204], v[169:170], s[0:1], -v[217:218]
	v_add_f64 v[110:111], v[203:204], v[110:111]
	v_mul_f64 v[203:204], v[167:168], s[28:29]
	v_fma_f64 v[207:208], v[163:164], s[20:21], v[203:204]
	v_add_f64 v[108:109], v[207:208], v[108:109]
	v_mul_f64 v[207:208], v[177:178], s[28:29]
	v_fma_f64 v[3:4], v[175:176], s[20:21], -v[207:208]
	v_add_f64 v[110:111], v[3:4], v[110:111]
	s_and_saveexec_b32 s33, vcc_lo
	s_cbranch_execz .LBB0_5
; %bb.4:
	v_mul_f64 v[3:4], v[245:246], s[22:23]
	v_mul_f64 v[7:8], v[245:246], s[20:21]
	s_mov_b32 s39, 0x3fe82f19
	s_mov_b32 s38, s28
	v_add_f64 v[153:154], v[96:97], v[153:154]
	v_add_f64 v[155:156], v[98:99], v[155:156]
	v_mul_f64 v[19:20], v[169:170], s[6:7]
	v_mul_f64 v[15:16], v[165:166], s[28:29]
	;; [unrolled: 1-line block ×3, first 2 shown]
	v_fma_f64 v[5:6], v[247:248], s[26:27], v[3:4]
	v_fma_f64 v[3:4], v[247:248], s[24:25], v[3:4]
	;; [unrolled: 1-line block ×4, first 2 shown]
	v_mul_f64 v[247:248], v[245:246], s[14:15]
	v_add_f64 v[130:131], v[155:156], v[130:131]
	v_fma_f64 v[21:22], v[171:172], s[12:13], v[19:20]
	v_fma_f64 v[17:18], v[161:162], s[20:21], v[15:16]
	;; [unrolled: 1-line block ×3, first 2 shown]
	v_mul_f64 v[155:156], v[187:188], s[14:15]
	v_add_f64 v[128:129], v[153:154], v[128:129]
	v_fma_f64 v[15:16], v[161:162], s[20:21], -v[15:16]
	v_fma_f64 v[19:20], v[171:172], s[30:31], v[19:20]
	v_fma_f64 v[23:24], v[177:178], s[16:17], v[23:24]
	v_add_f64 v[5:6], v[98:99], v[5:6]
	v_add_f64 v[3:4], v[98:99], v[3:4]
	;; [unrolled: 1-line block ×5, first 2 shown]
	v_mul_f64 v[247:248], v[245:246], s[6:7]
	v_mul_f64 v[245:246], v[245:246], s[0:1]
	v_add_f64 v[122:123], v[130:131], v[122:123]
	v_add_f64 v[120:121], v[128:129], v[120:121]
	v_mul_f64 v[128:129], v[173:174], s[6:7]
	v_add_f64 v[0:1], v[98:99], v[0:1]
	v_add_f64 v[247:248], v[251:252], v[247:248]
	;; [unrolled: 1-line block ×3, first 2 shown]
	v_mul_f64 v[245:246], v[237:238], s[0:1]
	v_mul_f64 v[251:252], v[239:240], s[24:25]
	;; [unrolled: 1-line block ×3, first 2 shown]
	v_add_f64 v[122:123], v[122:123], v[141:142]
	v_add_f64 v[120:121], v[120:121], v[143:144]
	v_mul_f64 v[141:142], v[165:166], s[18:19]
	v_add_f64 v[128:129], v[231:232], v[128:129]
	v_add_f64 v[247:248], v[98:99], v[247:248]
	;; [unrolled: 1-line block ×3, first 2 shown]
	v_add_f64 v[241:242], v[245:246], -v[241:242]
	v_mul_f64 v[245:246], v[237:238], s[6:7]
	v_fma_f64 v[11:12], v[237:238], s[20:21], -v[239:240]
	v_fma_f64 v[13:14], v[237:238], s[20:21], v[239:240]
	v_add_f64 v[122:123], v[122:123], v[151:152]
	v_add_f64 v[120:121], v[120:121], v[149:150]
	v_fma_f64 v[143:144], v[161:162], s[0:1], v[141:142]
	v_mul_f64 v[151:152], v[169:170], s[0:1]
	v_fma_f64 v[141:142], v[161:162], s[0:1], -v[141:142]
	v_add_f64 v[241:242], v[96:97], v[241:242]
	v_add_f64 v[245:246], v[245:246], -v[249:250]
	v_mul_f64 v[249:250], v[237:238], s[14:15]
	v_add_f64 v[11:12], v[96:97], v[11:12]
	v_add_f64 v[13:14], v[96:97], v[13:14]
	;; [unrolled: 1-line block ×4, first 2 shown]
	v_add_f64 v[249:250], v[249:250], -v[253:254]
	v_fma_f64 v[253:254], v[237:238], s[22:23], v[251:252]
	v_fma_f64 v[251:252], v[237:238], s[22:23], -v[251:252]
	v_add_f64 v[249:250], v[96:97], v[249:250]
	v_add_f64 v[237:238], v[96:97], v[253:254]
	v_add_f64 v[239:240], v[96:97], v[251:252]
	v_mul_f64 v[251:252], v[187:188], s[0:1]
	v_mul_f64 v[253:254], v[181:182], s[34:35]
	;; [unrolled: 1-line block ×3, first 2 shown]
	v_fma_f64 v[96:97], v[191:192], s[18:19], v[251:252]
	v_fma_f64 v[153:154], v[191:192], s[34:35], v[251:252]
	v_add_f64 v[5:6], v[96:97], v[5:6]
	v_fma_f64 v[96:97], v[179:180], s[0:1], v[253:254]
	v_add_f64 v[3:4], v[153:154], v[3:4]
	v_mul_f64 v[153:154], v[169:170], s[14:15]
	v_add_f64 v[96:97], v[96:97], v[237:238]
	v_mul_f64 v[237:238], v[173:174], s[20:21]
	v_add_f64 v[153:154], v[195:196], v[153:154]
	v_add_f64 v[17:18], v[17:18], v[96:97]
	v_fma_f64 v[98:99], v[185:186], s[38:39], v[237:238]
	v_add_f64 v[5:6], v[98:99], v[5:6]
	v_add_f64 v[5:6], v[21:22], v[5:6]
	v_mul_f64 v[21:22], v[159:160], s[30:31]
	v_add_f64 v[98:99], v[25:26], v[5:6]
	v_fma_f64 v[96:97], v[157:158], s[6:7], v[21:22]
	v_mul_f64 v[5:6], v[167:168], s[16:17]
	v_add_f64 v[17:18], v[96:97], v[17:18]
	v_fma_f64 v[25:26], v[163:164], s[14:15], v[5:6]
	v_fma_f64 v[5:6], v[163:164], s[14:15], -v[5:6]
	v_add_f64 v[96:97], v[25:26], v[17:18]
	v_mul_f64 v[17:18], v[187:188], s[6:7]
	v_mul_f64 v[25:26], v[179:180], s[6:7]
	v_add_f64 v[17:18], v[205:206], v[17:18]
	v_add_f64 v[25:26], v[25:26], -v[197:198]
	v_mul_f64 v[197:198], v[173:174], s[14:15]
	v_mul_f64 v[205:206], v[161:162], s[14:15]
	v_add_f64 v[17:18], v[17:18], v[243:244]
	v_add_f64 v[25:26], v[25:26], v[241:242]
	v_add_f64 v[197:198], v[211:212], v[197:198]
	v_add_f64 v[205:206], v[205:206], -v[209:210]
	v_mul_f64 v[209:210], v[169:170], s[20:21]
	v_mul_f64 v[211:212], v[157:158], s[20:21]
	v_add_f64 v[17:18], v[197:198], v[17:18]
	v_add_f64 v[25:26], v[205:206], v[25:26]
	v_add_f64 v[209:210], v[221:222], v[209:210]
	v_add_f64 v[211:212], v[211:212], -v[215:216]
	v_mul_f64 v[215:216], v[175:176], s[22:23]
	v_mul_f64 v[221:222], v[163:164], s[22:23]
	v_add_f64 v[17:18], v[209:210], v[17:18]
	v_add_f64 v[215:216], v[229:230], v[215:216]
	v_add_f64 v[221:222], v[221:222], -v[227:228]
	v_fma_f64 v[227:228], v[191:192], s[16:17], v[155:156]
	v_fma_f64 v[155:156], v[191:192], s[36:37], v[155:156]
	v_mul_f64 v[191:192], v[187:188], s[22:23]
	v_mul_f64 v[229:230], v[179:180], s[22:23]
	v_mul_f64 v[187:188], v[187:188], s[20:21]
	v_add_f64 v[9:10], v[227:228], v[9:10]
	v_add_f64 v[7:8], v[155:156], v[7:8]
	;; [unrolled: 1-line block ×3, first 2 shown]
	v_add_f64 v[229:230], v[229:230], -v[233:234]
	v_add_f64 v[187:188], v[225:226], v[187:188]
	v_fma_f64 v[225:226], v[179:180], s[0:1], -v[253:254]
	v_fma_f64 v[233:234], v[179:180], s[14:15], v[181:182]
	v_fma_f64 v[181:182], v[179:180], s[14:15], -v[181:182]
	v_mul_f64 v[179:180], v[179:180], s[20:21]
	v_mul_f64 v[235:236], v[173:174], s[0:1]
	v_add_f64 v[0:1], v[191:192], v[0:1]
	v_add_f64 v[149:150], v[229:230], v[249:250]
	;; [unrolled: 1-line block ×5, first 2 shown]
	v_add_f64 v[179:180], v[179:180], -v[219:220]
	v_fma_f64 v[219:220], v[185:186], s[28:29], v[237:238]
	v_fma_f64 v[237:238], v[185:186], s[34:35], v[235:236]
	;; [unrolled: 1-line block ×3, first 2 shown]
	v_add_f64 v[0:1], v[128:129], v[0:1]
	v_mul_f64 v[128:129], v[157:158], s[0:1]
	v_add_f64 v[15:16], v[15:16], v[130:131]
	v_add_f64 v[130:131], v[187:188], v[247:248]
	;; [unrolled: 1-line block ×8, first 2 shown]
	v_add_f64 v[128:129], v[128:129], -v[213:214]
	v_add_f64 v[3:4], v[19:20], v[3:4]
	v_fma_f64 v[19:20], v[157:158], s[6:7], -v[21:22]
	v_add_f64 v[21:22], v[122:123], v[147:148]
	v_mul_f64 v[122:123], v[173:174], s[22:23]
	v_add_f64 v[147:148], v[179:180], v[245:246]
	v_add_f64 v[15:16], v[19:20], v[15:16]
	;; [unrolled: 1-line block ×6, first 2 shown]
	v_mul_f64 v[137:138], v[169:170], s[22:23]
	v_mul_f64 v[120:121], v[161:162], s[6:7]
	;; [unrolled: 1-line block ×3, first 2 shown]
	v_add_f64 v[25:26], v[25:26], v[139:140]
	v_add_f64 v[122:123], v[122:123], v[130:131]
	v_mul_f64 v[130:131], v[159:160], s[24:25]
	v_fma_f64 v[139:140], v[171:172], s[26:27], v[137:138]
	v_add_f64 v[120:121], v[120:121], -v[223:224]
	v_add_f64 v[145:146], v[145:146], -v[199:200]
	v_fma_f64 v[137:138], v[171:172], s[24:25], v[137:138]
	v_add_f64 v[21:22], v[21:22], v[135:136]
	v_add_f64 v[25:26], v[25:26], v[133:134]
	;; [unrolled: 1-line block ×3, first 2 shown]
	v_fma_f64 v[155:156], v[157:158], s[22:23], v[130:131]
	v_fma_f64 v[130:131], v[157:158], s[22:23], -v[130:131]
	v_mul_f64 v[157:158], v[157:158], s[14:15]
	v_add_f64 v[9:10], v[139:140], v[9:10]
	v_mul_f64 v[139:140], v[163:164], s[20:21]
	v_mul_f64 v[122:123], v[167:168], s[30:31]
	v_add_f64 v[145:146], v[145:146], v[147:148]
	v_add_f64 v[120:121], v[120:121], v[149:150]
	;; [unrolled: 1-line block ×3, first 2 shown]
	v_mul_f64 v[137:138], v[175:176], s[20:21]
	v_mul_f64 v[133:134], v[175:176], s[6:7]
	v_add_f64 v[21:22], v[21:22], v[114:115]
	v_add_f64 v[114:115], v[23:24], v[3:4]
	;; [unrolled: 1-line block ×6, first 2 shown]
	v_add_f64 v[157:158], v[157:158], -v[193:194]
	v_add_f64 v[147:148], v[139:140], -v[203:204]
	v_mul_f64 v[139:140], v[175:176], s[0:1]
	v_fma_f64 v[149:150], v[163:164], s[6:7], v[122:123]
	v_fma_f64 v[151:152], v[163:164], s[6:7], -v[122:123]
	v_mul_f64 v[122:123], v[163:164], s[0:1]
	v_add_f64 v[137:138], v[207:208], v[137:138]
	v_add_f64 v[128:129], v[128:129], v[120:121]
	v_fma_f64 v[135:136], v[177:178], s[12:13], v[133:134]
	v_fma_f64 v[133:134], v[177:178], s[30:31], v[133:134]
	v_add_f64 v[120:121], v[221:222], v[19:20]
	v_add_f64 v[118:119], v[21:22], v[118:119]
	;; [unrolled: 1-line block ×5, first 2 shown]
	v_add_f64 v[153:154], v[122:123], -v[183:184]
	v_add_f64 v[122:123], v[215:216], v[17:18]
	v_add_f64 v[139:140], v[137:138], v[0:1]
	;; [unrolled: 1-line block ×3, first 2 shown]
	v_lshrrev_b32_e32 v0, 6, v27
	v_add_f64 v[130:131], v[135:136], v[9:10]
	v_add_f64 v[135:136], v[133:134], v[7:8]
	;; [unrolled: 1-line block ×4, first 2 shown]
	v_mul_u32_u24_e32 v0, 0x2c0, v0
	v_and_b32_e32 v1, 63, v27
	v_or_b32_e32 v0, v0, v1
	v_add_f64 v[143:144], v[141:142], v[143:144]
	v_lshlrev_b32_e32 v0, 4, v0
	v_add_f64 v[141:142], v[153:154], v[145:146]
	ds_write_b128 v0, v[120:123] offset:1024
	ds_write_b128 v0, v[141:144] offset:2048
	;; [unrolled: 1-line block ×5, first 2 shown]
	ds_write_b128 v0, v[116:119]
	ds_write_b128 v0, v[96:99] offset:6144
	ds_write_b128 v0, v[128:131] offset:7168
	;; [unrolled: 1-line block ×5, first 2 shown]
.LBB0_5:
	s_or_b32 exec_lo, exec_lo, s33
	v_add_co_u32 v5, s0, s2, v2
	v_add_co_ci_u32_e64 v6, null, s3, 0, s0
	s_waitcnt lgkmcnt(0)
	v_add_co_u32 v0, s0, 0x2800, v5
	v_add_co_ci_u32_e64 v1, s0, 0, v6, s0
	s_barrier
	buffer_gl0_inv
	global_load_dwordx4 v[96:99], v[0:1], off offset:992
	v_add_co_u32 v0, s0, 0x3000, v5
	v_add_co_ci_u32_e64 v1, s0, 0, v6, s0
	v_add_co_u32 v3, s0, 0x4000, v5
	v_add_co_ci_u32_e64 v4, s0, 0, v6, s0
	;; [unrolled: 2-line block ×3, first 2 shown]
	s_clause 0x2
	global_load_dwordx4 v[120:123], v[0:1], off offset:1760
	global_load_dwordx4 v[112:115], v[3:4], off offset:480
	global_load_dwordx4 v[116:119], v[5:6], off offset:1248
	ds_read_b128 v[128:131], v2 offset:11264
	ds_read_b128 v[133:136], v2 offset:14080
	;; [unrolled: 1-line block ×4, first 2 shown]
	ds_read_b128 v[145:148], v2
	ds_read_b128 v[149:152], v2 offset:2816
	s_waitcnt vmcnt(3) lgkmcnt(5)
	v_mul_f64 v[0:1], v[130:131], v[98:99]
	v_mul_f64 v[3:4], v[128:129], v[98:99]
	s_waitcnt vmcnt(2) lgkmcnt(4)
	v_mul_f64 v[5:6], v[135:136], v[122:123]
	v_mul_f64 v[7:8], v[133:134], v[122:123]
	;; [unrolled: 3-line block ×4, first 2 shown]
	v_fma_f64 v[0:1], v[128:129], v[96:97], -v[0:1]
	v_fma_f64 v[3:4], v[130:131], v[96:97], v[3:4]
	ds_read_b128 v[128:131], v2 offset:5632
	v_fma_f64 v[5:6], v[133:134], v[120:121], -v[5:6]
	v_fma_f64 v[7:8], v[135:136], v[120:121], v[7:8]
	ds_read_b128 v[133:136], v2 offset:8448
	v_fma_f64 v[9:10], v[137:138], v[112:113], -v[9:10]
	v_fma_f64 v[11:12], v[139:140], v[112:113], v[11:12]
	v_fma_f64 v[13:14], v[141:142], v[116:117], -v[13:14]
	v_fma_f64 v[15:16], v[143:144], v[116:117], v[15:16]
	s_waitcnt lgkmcnt(3)
	v_add_f64 v[137:138], v[145:146], -v[0:1]
	v_add_f64 v[139:140], v[147:148], -v[3:4]
	v_add_co_u32 v0, s0, 0x5800, v255
	v_add_co_ci_u32_e64 v1, s0, 0, v132, s0
	v_add_co_u32 v3, s0, 0x8000, v255
	v_add_co_ci_u32_e64 v4, s0, 0, v132, s0
	s_waitcnt lgkmcnt(2)
	v_add_f64 v[141:142], v[149:150], -v[5:6]
	v_add_f64 v[143:144], v[151:152], -v[7:8]
	v_add_co_u32 v5, s0, 0x6000, v255
	s_waitcnt lgkmcnt(1)
	v_add_f64 v[153:154], v[128:129], -v[9:10]
	v_add_f64 v[155:156], v[130:131], -v[11:12]
	s_waitcnt lgkmcnt(0)
	v_add_f64 v[157:158], v[133:134], -v[13:14]
	v_add_f64 v[159:160], v[135:136], -v[15:16]
	v_add_co_ci_u32_e64 v6, s0, 0, v132, s0
	v_fma_f64 v[145:146], v[145:146], 2.0, -v[137:138]
	v_fma_f64 v[147:148], v[147:148], 2.0, -v[139:140]
	v_add_co_u32 v7, s0, 0x8800, v255
	v_add_co_ci_u32_e64 v8, s0, 0, v132, s0
	v_add_co_u32 v9, s0, 0x6800, v255
	v_add_co_ci_u32_e64 v10, s0, 0, v132, s0
	v_add_co_u32 v11, s0, 0x9800, v255
	v_fma_f64 v[149:150], v[149:150], 2.0, -v[141:142]
	v_fma_f64 v[151:152], v[151:152], 2.0, -v[143:144]
	v_add_co_ci_u32_e64 v12, s0, 0, v132, s0
	v_fma_f64 v[128:129], v[128:129], 2.0, -v[153:154]
	v_fma_f64 v[130:131], v[130:131], 2.0, -v[155:156]
	;; [unrolled: 1-line block ×4, first 2 shown]
	ds_write_b128 v2, v[137:140] offset:11264
	ds_write_b128 v2, v[141:144] offset:14080
	;; [unrolled: 1-line block ×4, first 2 shown]
	ds_write_b128 v2, v[145:148]
	ds_write_b128 v2, v[149:152] offset:2816
	ds_write_b128 v2, v[128:131] offset:5632
	;; [unrolled: 1-line block ×3, first 2 shown]
	s_waitcnt lgkmcnt(0)
	s_barrier
	buffer_gl0_inv
	global_load_dwordx4 v[128:131], v[0:1], off
	v_add_co_u32 v0, s0, 0x7800, v255
	v_add_co_ci_u32_e64 v1, s0, 0, v132, s0
	s_clause 0x3
	global_load_dwordx4 v[133:136], v[3:4], off offset:1024
	global_load_dwordx4 v[137:140], v[5:6], off offset:768
	;; [unrolled: 1-line block ×4, first 2 shown]
	v_add_co_u32 v3, s0, 0xa000, v255
	v_add_co_ci_u32_e64 v4, s0, 0, v132, s0
	s_clause 0x2
	global_load_dwordx4 v[149:152], v[11:12], off offset:512
	global_load_dwordx4 v[153:156], v[0:1], off offset:256
	;; [unrolled: 1-line block ×3, first 2 shown]
	ds_read_b128 v[161:164], v2
	ds_read_b128 v[165:168], v2 offset:11264
	ds_read_b128 v[169:172], v2 offset:2816
	ds_read_b128 v[173:176], v2 offset:14080
	ds_read_b128 v[177:180], v2 offset:5632
	ds_read_b128 v[181:184], v2 offset:16896
	ds_read_b128 v[185:188], v2 offset:8448
	ds_read_b128 v[189:192], v2 offset:19712
	s_waitcnt vmcnt(7) lgkmcnt(7)
	v_mul_f64 v[0:1], v[163:164], v[130:131]
	v_mul_f64 v[3:4], v[161:162], v[130:131]
	s_waitcnt vmcnt(6) lgkmcnt(6)
	v_mul_f64 v[5:6], v[167:168], v[135:136]
	v_mul_f64 v[7:8], v[165:166], v[135:136]
	;; [unrolled: 3-line block ×8, first 2 shown]
	v_fma_f64 v[159:160], v[161:162], v[128:129], -v[0:1]
	v_fma_f64 v[161:162], v[163:164], v[128:129], v[3:4]
	v_fma_f64 v[128:129], v[165:166], v[133:134], -v[5:6]
	v_fma_f64 v[130:131], v[167:168], v[133:134], v[7:8]
	;; [unrolled: 2-line block ×8, first 2 shown]
	ds_write_b128 v2, v[159:162]
	ds_write_b128 v2, v[128:131] offset:11264
	ds_write_b128 v2, v[132:135] offset:2816
	;; [unrolled: 1-line block ×7, first 2 shown]
	s_waitcnt lgkmcnt(0)
	s_barrier
	buffer_gl0_inv
	ds_read_b128 v[128:131], v2 offset:11264
	ds_read_b128 v[132:135], v2
	ds_read_b128 v[136:139], v2 offset:2816
	ds_read_b128 v[140:143], v2 offset:14080
	ds_read_b128 v[144:147], v2 offset:16896
	ds_read_b128 v[148:151], v2 offset:5632
	ds_read_b128 v[152:155], v2 offset:8448
	ds_read_b128 v[156:159], v2 offset:19712
	v_lshlrev_b32_e32 v0, 5, v27
	s_waitcnt lgkmcnt(0)
	s_barrier
	buffer_gl0_inv
	v_add_f64 v[128:129], v[132:133], -v[128:129]
	v_add_f64 v[130:131], v[134:135], -v[130:131]
	;; [unrolled: 1-line block ×8, first 2 shown]
	v_fma_f64 v[132:133], v[132:133], 2.0, -v[128:129]
	v_fma_f64 v[134:135], v[134:135], 2.0, -v[130:131]
	ds_write_b128 v0, v[128:131] offset:16
	ds_write_b128 v0, v[132:135]
	buffer_load_dword v0, off, s[40:43], 0 offset:128 ; 4-byte Folded Reload
	v_fma_f64 v[136:137], v[136:137], 2.0, -v[140:141]
	v_fma_f64 v[138:139], v[138:139], 2.0, -v[142:143]
	;; [unrolled: 1-line block ×6, first 2 shown]
	s_waitcnt vmcnt(0)
	ds_write_b128 v0, v[136:139]
	ds_write_b128 v0, v[140:143] offset:16
	buffer_load_dword v0, off, s[40:43], 0 offset:124 ; 4-byte Folded Reload
	s_waitcnt vmcnt(0)
	ds_write_b128 v0, v[148:151]
	ds_write_b128 v0, v[144:147] offset:16
	buffer_load_dword v0, off, s[40:43], 0 offset:120 ; 4-byte Folded Reload
	s_waitcnt vmcnt(0)
	ds_write_b128 v0, v[152:155]
	ds_write_b128 v0, v[156:159] offset:16
	s_waitcnt lgkmcnt(0)
	s_barrier
	buffer_gl0_inv
	ds_read_b128 v[128:131], v2 offset:11264
	ds_read_b128 v[132:135], v2 offset:14080
	;; [unrolled: 1-line block ×4, first 2 shown]
	ds_read_b128 v[144:147], v2
	ds_read_b128 v[148:151], v2 offset:2816
	s_waitcnt lgkmcnt(5)
	v_mul_f64 v[0:1], v[34:35], v[130:131]
	v_mul_f64 v[3:4], v[34:35], v[128:129]
	s_waitcnt lgkmcnt(4)
	v_mul_f64 v[5:6], v[34:35], v[134:135]
	v_mul_f64 v[7:8], v[34:35], v[132:133]
	;; [unrolled: 3-line block ×4, first 2 shown]
	v_fma_f64 v[0:1], v[32:33], v[128:129], v[0:1]
	v_fma_f64 v[3:4], v[32:33], v[130:131], -v[3:4]
	v_fma_f64 v[5:6], v[32:33], v[132:133], v[5:6]
	v_fma_f64 v[7:8], v[32:33], v[134:135], -v[7:8]
	;; [unrolled: 2-line block ×3, first 2 shown]
	v_fma_f64 v[13:14], v[32:33], v[140:141], v[13:14]
	ds_read_b128 v[128:131], v2 offset:5632
	v_fma_f64 v[15:16], v[32:33], v[142:143], -v[15:16]
	ds_read_b128 v[32:35], v2 offset:8448
	s_waitcnt lgkmcnt(0)
	s_barrier
	buffer_gl0_inv
	v_add_f64 v[132:133], v[144:145], -v[0:1]
	buffer_load_dword v0, off, s[40:43], 0 offset:144 ; 4-byte Folded Reload
	v_add_f64 v[134:135], v[146:147], -v[3:4]
	v_add_f64 v[136:137], v[148:149], -v[5:6]
	;; [unrolled: 1-line block ×7, first 2 shown]
	v_fma_f64 v[144:145], v[144:145], 2.0, -v[132:133]
	v_fma_f64 v[146:147], v[146:147], 2.0, -v[134:135]
	;; [unrolled: 1-line block ×8, first 2 shown]
	s_waitcnt vmcnt(0)
	ds_write_b128 v0, v[132:135] offset:32
	ds_write_b128 v0, v[144:147]
	buffer_load_dword v0, off, s[40:43], 0 offset:140 ; 4-byte Folded Reload
	s_waitcnt vmcnt(0)
	ds_write_b128 v0, v[148:151]
	ds_write_b128 v0, v[136:139] offset:32
	buffer_load_dword v0, off, s[40:43], 0 offset:136 ; 4-byte Folded Reload
	s_waitcnt vmcnt(0)
	ds_write_b128 v0, v[128:131]
	ds_write_b128 v0, v[140:143] offset:32
	;; [unrolled: 4-line block ×3, first 2 shown]
	s_waitcnt lgkmcnt(0)
	s_barrier
	buffer_gl0_inv
	ds_read_b128 v[32:35], v2 offset:11264
	ds_read_b128 v[128:131], v2 offset:14080
	;; [unrolled: 1-line block ×4, first 2 shown]
	ds_read_b128 v[140:143], v2
	ds_read_b128 v[144:147], v2 offset:2816
	s_waitcnt lgkmcnt(5)
	v_mul_f64 v[0:1], v[38:39], v[34:35]
	v_mul_f64 v[3:4], v[38:39], v[32:33]
	s_waitcnt lgkmcnt(4)
	v_mul_f64 v[5:6], v[38:39], v[130:131]
	v_mul_f64 v[7:8], v[38:39], v[128:129]
	;; [unrolled: 3-line block ×4, first 2 shown]
	v_fma_f64 v[0:1], v[36:37], v[32:33], v[0:1]
	v_fma_f64 v[3:4], v[36:37], v[34:35], -v[3:4]
	v_fma_f64 v[5:6], v[36:37], v[128:129], v[5:6]
	v_fma_f64 v[7:8], v[36:37], v[130:131], -v[7:8]
	v_fma_f64 v[9:10], v[36:37], v[132:133], v[9:10]
	v_fma_f64 v[11:12], v[36:37], v[134:135], -v[11:12]
	v_fma_f64 v[13:14], v[36:37], v[136:137], v[13:14]
	ds_read_b128 v[32:35], v2 offset:5632
	v_fma_f64 v[15:16], v[36:37], v[138:139], -v[15:16]
	ds_read_b128 v[36:39], v2 offset:8448
	s_waitcnt lgkmcnt(0)
	s_barrier
	buffer_gl0_inv
	v_add_f64 v[128:129], v[140:141], -v[0:1]
	buffer_load_dword v0, off, s[40:43], 0 offset:160 ; 4-byte Folded Reload
	v_add_f64 v[130:131], v[142:143], -v[3:4]
	v_add_f64 v[132:133], v[144:145], -v[5:6]
	;; [unrolled: 1-line block ×7, first 2 shown]
	v_fma_f64 v[140:141], v[140:141], 2.0, -v[128:129]
	v_fma_f64 v[142:143], v[142:143], 2.0, -v[130:131]
	v_fma_f64 v[144:145], v[144:145], 2.0, -v[132:133]
	v_fma_f64 v[146:147], v[146:147], 2.0, -v[134:135]
	v_fma_f64 v[32:33], v[32:33], 2.0, -v[136:137]
	v_fma_f64 v[34:35], v[34:35], 2.0, -v[138:139]
	v_fma_f64 v[36:37], v[36:37], 2.0, -v[148:149]
	v_fma_f64 v[38:39], v[38:39], 2.0, -v[150:151]
	s_waitcnt vmcnt(0)
	ds_write_b128 v0, v[128:131] offset:64
	ds_write_b128 v0, v[140:143]
	buffer_load_dword v0, off, s[40:43], 0 offset:156 ; 4-byte Folded Reload
	s_waitcnt vmcnt(0)
	ds_write_b128 v0, v[144:147]
	ds_write_b128 v0, v[132:135] offset:64
	buffer_load_dword v0, off, s[40:43], 0 offset:152 ; 4-byte Folded Reload
	s_waitcnt vmcnt(0)
	ds_write_b128 v0, v[32:35]
	ds_write_b128 v0, v[136:139] offset:64
	buffer_load_dword v0, off, s[40:43], 0 offset:148 ; 4-byte Folded Reload
	s_waitcnt vmcnt(0)
	ds_write_b128 v0, v[36:39]
	ds_write_b128 v0, v[148:151] offset:64
	s_waitcnt lgkmcnt(0)
	s_barrier
	buffer_gl0_inv
	ds_read_b128 v[32:35], v2 offset:11264
	ds_read_b128 v[36:39], v2 offset:14080
	;; [unrolled: 1-line block ×4, first 2 shown]
	ds_read_b128 v[136:139], v2
	ds_read_b128 v[140:143], v2 offset:2816
	s_waitcnt lgkmcnt(5)
	v_mul_f64 v[0:1], v[42:43], v[34:35]
	v_mul_f64 v[3:4], v[42:43], v[32:33]
	s_waitcnt lgkmcnt(4)
	v_mul_f64 v[5:6], v[42:43], v[38:39]
	v_mul_f64 v[7:8], v[42:43], v[36:37]
	;; [unrolled: 3-line block ×4, first 2 shown]
	v_fma_f64 v[0:1], v[40:41], v[32:33], v[0:1]
	v_fma_f64 v[3:4], v[40:41], v[34:35], -v[3:4]
	v_fma_f64 v[5:6], v[40:41], v[36:37], v[5:6]
	v_fma_f64 v[7:8], v[40:41], v[38:39], -v[7:8]
	;; [unrolled: 2-line block ×3, first 2 shown]
	v_fma_f64 v[13:14], v[40:41], v[132:133], v[13:14]
	ds_read_b128 v[32:35], v2 offset:5632
	ds_read_b128 v[36:39], v2 offset:8448
	v_fma_f64 v[15:16], v[40:41], v[134:135], -v[15:16]
	s_waitcnt lgkmcnt(0)
	s_barrier
	buffer_gl0_inv
	v_add_f64 v[40:41], v[136:137], -v[0:1]
	buffer_load_dword v0, off, s[40:43], 0 offset:176 ; 4-byte Folded Reload
	v_add_f64 v[42:43], v[138:139], -v[3:4]
	v_add_f64 v[128:129], v[140:141], -v[5:6]
	;; [unrolled: 1-line block ×7, first 2 shown]
	v_fma_f64 v[136:137], v[136:137], 2.0, -v[40:41]
	v_fma_f64 v[138:139], v[138:139], 2.0, -v[42:43]
	;; [unrolled: 1-line block ×7, first 2 shown]
	s_waitcnt vmcnt(0)
	ds_write_b128 v0, v[40:43] offset:128
	ds_write_b128 v0, v[136:139]
	buffer_load_dword v0, off, s[40:43], 0 offset:172 ; 4-byte Folded Reload
	v_fma_f64 v[38:39], v[38:39], 2.0, -v[146:147]
	s_waitcnt vmcnt(0)
	ds_write_b128 v0, v[140:143]
	ds_write_b128 v0, v[128:131] offset:128
	buffer_load_dword v0, off, s[40:43], 0 offset:168 ; 4-byte Folded Reload
	s_waitcnt vmcnt(0)
	ds_write_b128 v0, v[32:35]
	ds_write_b128 v0, v[132:135] offset:128
	buffer_load_dword v0, off, s[40:43], 0 offset:164 ; 4-byte Folded Reload
	s_waitcnt vmcnt(0)
	ds_write_b128 v0, v[36:39]
	ds_write_b128 v0, v[144:147] offset:128
	s_waitcnt lgkmcnt(0)
	s_barrier
	buffer_gl0_inv
	ds_read_b128 v[32:35], v2 offset:11264
	ds_read_b128 v[36:39], v2 offset:14080
	;; [unrolled: 1-line block ×4, first 2 shown]
	ds_read_b128 v[132:135], v2
	ds_read_b128 v[136:139], v2 offset:2816
	s_waitcnt lgkmcnt(5)
	v_mul_f64 v[0:1], v[46:47], v[34:35]
	v_mul_f64 v[3:4], v[46:47], v[32:33]
	s_waitcnt lgkmcnt(4)
	v_mul_f64 v[5:6], v[46:47], v[38:39]
	v_mul_f64 v[7:8], v[46:47], v[36:37]
	;; [unrolled: 3-line block ×4, first 2 shown]
	v_fma_f64 v[0:1], v[44:45], v[32:33], v[0:1]
	v_fma_f64 v[3:4], v[44:45], v[34:35], -v[3:4]
	v_fma_f64 v[5:6], v[44:45], v[36:37], v[5:6]
	v_fma_f64 v[7:8], v[44:45], v[38:39], -v[7:8]
	v_fma_f64 v[9:10], v[44:45], v[40:41], v[9:10]
	ds_read_b128 v[32:35], v2 offset:5632
	ds_read_b128 v[36:39], v2 offset:8448
	s_waitcnt lgkmcnt(0)
	s_barrier
	buffer_gl0_inv
	v_fma_f64 v[11:12], v[44:45], v[42:43], -v[11:12]
	v_fma_f64 v[13:14], v[44:45], v[128:129], v[13:14]
	v_fma_f64 v[15:16], v[44:45], v[130:131], -v[15:16]
	v_add_f64 v[40:41], v[132:133], -v[0:1]
	buffer_load_dword v0, off, s[40:43], 0 offset:204 ; 4-byte Folded Reload
	v_add_f64 v[42:43], v[134:135], -v[3:4]
	v_add_f64 v[44:45], v[136:137], -v[5:6]
	;; [unrolled: 1-line block ×7, first 2 shown]
	v_fma_f64 v[132:133], v[132:133], 2.0, -v[40:41]
	v_fma_f64 v[134:135], v[134:135], 2.0, -v[42:43]
	;; [unrolled: 1-line block ×5, first 2 shown]
	s_waitcnt vmcnt(0)
	ds_write_b128 v0, v[40:43] offset:256
	ds_write_b128 v0, v[132:135]
	buffer_load_dword v0, off, s[40:43], 0 offset:196 ; 4-byte Folded Reload
	v_fma_f64 v[34:35], v[34:35], 2.0, -v[130:131]
	v_fma_f64 v[36:37], v[36:37], 2.0, -v[140:141]
	;; [unrolled: 1-line block ×3, first 2 shown]
	s_waitcnt vmcnt(0)
	ds_write_b128 v0, v[136:139]
	ds_write_b128 v0, v[44:47] offset:256
	buffer_load_dword v0, off, s[40:43], 0 offset:188 ; 4-byte Folded Reload
	s_waitcnt vmcnt(0)
	ds_write_b128 v0, v[32:35]
	ds_write_b128 v0, v[128:131] offset:256
	buffer_load_dword v0, off, s[40:43], 0 offset:180 ; 4-byte Folded Reload
	s_waitcnt vmcnt(0)
	ds_write_b128 v0, v[36:39]
	ds_write_b128 v0, v[140:143] offset:256
	s_waitcnt lgkmcnt(0)
	s_barrier
	buffer_gl0_inv
	ds_read_b128 v[32:35], v2 offset:11264
	ds_read_b128 v[36:39], v2 offset:14080
	ds_read_b128 v[40:43], v2 offset:16896
	ds_read_b128 v[44:47], v2 offset:19712
	ds_read_b128 v[128:131], v2
	ds_read_b128 v[132:135], v2 offset:2816
	ds_read_b128 v[136:139], v2 offset:8448
	s_waitcnt lgkmcnt(6)
	v_mul_f64 v[0:1], v[58:59], v[34:35]
	v_mul_f64 v[3:4], v[58:59], v[32:33]
	s_waitcnt lgkmcnt(5)
	v_mul_f64 v[5:6], v[54:55], v[38:39]
	s_waitcnt lgkmcnt(4)
	v_mul_f64 v[9:10], v[58:59], v[42:43]
	v_mul_f64 v[11:12], v[58:59], v[40:41]
	;; [unrolled: 1-line block ×3, first 2 shown]
	s_waitcnt lgkmcnt(3)
	v_mul_f64 v[13:14], v[126:127], v[46:47]
	v_mul_f64 v[15:16], v[126:127], v[44:45]
	v_fma_f64 v[0:1], v[56:57], v[32:33], v[0:1]
	v_fma_f64 v[3:4], v[56:57], v[34:35], -v[3:4]
	v_fma_f64 v[5:6], v[124:125], v[36:37], v[5:6]
	v_fma_f64 v[9:10], v[56:57], v[40:41], v[9:10]
	v_fma_f64 v[11:12], v[56:57], v[42:43], -v[11:12]
	ds_read_b128 v[56:59], v2 offset:5632
	s_waitcnt lgkmcnt(0)
	s_barrier
	buffer_gl0_inv
	v_fma_f64 v[7:8], v[124:125], v[38:39], -v[7:8]
	v_fma_f64 v[13:14], v[52:53], v[44:45], v[13:14]
	v_fma_f64 v[15:16], v[52:53], v[46:47], -v[15:16]
	v_add_f64 v[36:37], v[128:129], -v[0:1]
	buffer_load_dword v0, off, s[40:43], 0 offset:208 ; 4-byte Folded Reload
	v_add_f64 v[38:39], v[130:131], -v[3:4]
	v_add_f64 v[40:41], v[132:133], -v[5:6]
	;; [unrolled: 1-line block ×7, first 2 shown]
	v_fma_f64 v[32:33], v[128:129], 2.0, -v[36:37]
	v_fma_f64 v[34:35], v[130:131], 2.0, -v[38:39]
	;; [unrolled: 1-line block ×5, first 2 shown]
	s_waitcnt vmcnt(0)
	ds_write_b128 v0, v[36:39] offset:512
	ds_write_b128 v0, v[32:35]
	buffer_load_dword v0, off, s[40:43], 0 offset:200 ; 4-byte Folded Reload
	v_fma_f64 v[46:47], v[134:135], 2.0, -v[42:43]
	v_fma_f64 v[128:129], v[136:137], 2.0, -v[124:125]
	;; [unrolled: 1-line block ×3, first 2 shown]
	s_waitcnt vmcnt(0)
	ds_write_b128 v0, v[44:47]
	ds_write_b128 v0, v[40:43] offset:512
	buffer_load_dword v0, off, s[40:43], 0 offset:192 ; 4-byte Folded Reload
	s_waitcnt vmcnt(0)
	ds_write_b128 v0, v[56:59]
	ds_write_b128 v0, v[52:55] offset:512
	buffer_load_dword v0, off, s[40:43], 0 offset:184 ; 4-byte Folded Reload
	s_waitcnt vmcnt(0)
	ds_write_b128 v0, v[128:131]
	ds_write_b128 v0, v[124:127] offset:512
	s_waitcnt lgkmcnt(0)
	s_barrier
	buffer_gl0_inv
	s_and_saveexec_b32 s0, vcc_lo
	s_cbranch_execz .LBB0_7
; %bb.6:
	ds_read_b128 v[32:35], v2
	ds_read_b128 v[36:39], v2 offset:2048
	ds_read_b128 v[44:47], v2 offset:4096
	;; [unrolled: 1-line block ×10, first 2 shown]
.LBB0_7:
	s_or_b32 exec_lo, exec_lo, s0
	s_waitcnt lgkmcnt(0)
	s_barrier
	buffer_gl0_inv
	s_and_saveexec_b32 s33, vcc_lo
	s_cbranch_execz .LBB0_9
; %bb.8:
	v_mul_f64 v[0:1], v[50:51], v[38:39]
	v_mul_f64 v[3:4], v[70:71], v[102:103]
	;; [unrolled: 1-line block ×18, first 2 shown]
	s_mov_b32 s22, 0xfd768dbf
	s_mov_b32 s23, 0xbfd207e7
	;; [unrolled: 1-line block ×4, first 2 shown]
	v_fma_f64 v[0:1], v[48:49], v[36:37], v[0:1]
	v_fma_f64 v[36:37], v[68:69], v[100:101], v[3:4]
	v_mul_f64 v[3:4], v[74:75], v[42:43]
	v_fma_f64 v[66:67], v[88:89], v[52:53], v[5:6]
	v_fma_f64 v[62:63], v[92:93], v[128:129], v[7:8]
	v_fma_f64 v[9:10], v[88:89], v[54:55], -v[9:10]
	v_fma_f64 v[5:6], v[60:61], v[44:45], v[21:22]
	v_fma_f64 v[44:45], v[64:65], v[104:105], v[23:24]
	v_fma_f64 v[7:8], v[48:49], v[38:39], -v[25:26]
	v_fma_f64 v[38:39], v[68:69], v[102:103], -v[50:51]
	;; [unrolled: 1-line block ×3, first 2 shown]
	v_mul_f64 v[74:75], v[74:75], v[40:41]
	s_mov_b32 s6, 0x9bcd5057
	v_fma_f64 v[52:53], v[84:85], v[126:127], -v[19:20]
	v_fma_f64 v[48:49], v[80:81], v[108:109], v[70:71]
	s_mov_b32 s19, 0xbfe82f19
	v_fma_f64 v[19:20], v[60:61], v[46:47], -v[82:83]
	s_mov_b32 s15, 0x3fe14ced
	s_mov_b32 s7, 0xbfeeb42a
	v_fma_f64 v[13:14], v[76:77], v[56:57], v[13:14]
	v_fma_f64 v[50:51], v[84:85], v[124:125], v[15:16]
	v_fma_f64 v[15:16], v[76:77], v[58:59], -v[17:18]
	s_mov_b32 s2, 0x7f775887
	v_add_f64 v[11:12], v[0:1], -v[36:37]
	v_fma_f64 v[3:4], v[72:73], v[40:41], v[3:4]
	v_fma_f64 v[40:41], v[64:65], v[106:107], -v[86:87]
	v_add_f64 v[84:85], v[0:1], v[36:37]
	s_mov_b32 s12, 0x8764f0ba
	s_mov_b32 s3, 0xbfe4f49e
	v_add_f64 v[21:22], v[5:6], -v[44:45]
	s_mov_b32 s13, 0x3feaeb8c
	v_add_f64 v[23:24], v[7:8], -v[38:39]
	v_add_f64 v[25:26], v[7:8], v[38:39]
	v_fma_f64 v[17:18], v[72:73], v[42:43], -v[74:75]
	v_fma_f64 v[42:43], v[80:81], v[110:111], -v[78:79]
	s_mov_b32 s27, 0x3fefac9e
	s_mov_b32 s26, s16
	v_add_f64 v[100:101], v[5:6], v[44:45]
	s_mov_b32 s0, 0x640f44db
	s_mov_b32 s1, 0xbfc2375f
	;; [unrolled: 1-line block ×4, first 2 shown]
	v_add_f64 v[58:59], v[13:14], -v[50:51]
	s_mov_b32 s29, 0xbfe14ced
	s_mov_b32 s31, 0x3fd207e7
	v_mul_f64 v[46:47], v[11:12], s[22:23]
	v_add_f64 v[60:61], v[3:4], -v[48:49]
	v_add_f64 v[72:73], v[19:20], -v[40:41]
	v_add_f64 v[80:81], v[19:20], v[40:41]
	v_mul_f64 v[110:111], v[11:12], s[18:19]
	v_mul_f64 v[156:157], v[11:12], s[16:17]
	;; [unrolled: 1-line block ×7, first 2 shown]
	v_add_f64 v[70:71], v[17:18], -v[42:43]
	v_add_f64 v[78:79], v[17:18], v[42:43]
	s_mov_b32 s28, s14
	s_mov_b32 s30, s22
	v_add_f64 v[7:8], v[34:35], v[7:8]
	v_add_f64 v[0:1], v[32:33], v[0:1]
	v_add_f64 v[56:57], v[66:67], -v[62:63]
	v_add_f64 v[68:69], v[15:16], -v[52:53]
	v_add_f64 v[76:77], v[15:16], v[52:53]
	v_add_f64 v[92:93], v[3:4], v[48:49]
	v_mul_f64 v[104:105], v[58:59], s[24:25]
	v_fma_f64 v[94:95], v[25:26], s[6:7], v[46:47]
	v_mul_f64 v[106:107], v[60:61], s[18:19]
	v_mul_f64 v[128:129], v[72:73], s[14:15]
	v_fma_f64 v[46:47], v[25:26], s[6:7], -v[46:47]
	v_fma_f64 v[160:161], v[25:26], s[2:3], v[110:111]
	v_mul_f64 v[134:135], v[60:61], s[28:29]
	v_fma_f64 v[142:143], v[80:81], s[12:13], v[86:87]
	v_mul_f64 v[150:151], v[72:73], s[26:27]
	v_fma_f64 v[144:145], v[84:85], s[6:7], -v[88:89]
	v_fma_f64 v[88:89], v[84:85], s[6:7], v[88:89]
	v_mul_f64 v[158:159], v[21:22], s[30:31]
	v_mul_f64 v[126:127], v[70:71], s[18:19]
	;; [unrolled: 1-line block ×3, first 2 shown]
	v_fma_f64 v[174:175], v[84:85], s[2:3], -v[136:137]
	v_fma_f64 v[86:87], v[80:81], s[12:13], -v[86:87]
	;; [unrolled: 1-line block ×3, first 2 shown]
	v_fma_f64 v[136:137], v[84:85], s[2:3], v[136:137]
	v_fma_f64 v[176:177], v[80:81], s[0:1], v[138:139]
	v_fma_f64 v[182:183], v[84:85], s[0:1], -v[168:169]
	s_mov_b32 s20, 0xd9c712b6
	s_mov_b32 s21, 0x3fda9628
	v_add_f64 v[7:8], v[7:8], v[19:20]
	v_add_f64 v[94:95], v[34:35], v[94:95]
	v_fma_f64 v[170:171], v[78:79], s[2:3], v[106:107]
	v_fma_f64 v[172:173], v[100:101], s[12:13], -v[128:129]
	v_fma_f64 v[128:129], v[100:101], s[12:13], v[128:129]
	v_add_f64 v[46:47], v[34:35], v[46:47]
	v_add_f64 v[160:161], v[34:35], v[160:161]
	;; [unrolled: 1-line block ×7, first 2 shown]
	v_mul_f64 v[102:103], v[56:57], s[16:17]
	v_mul_f64 v[124:125], v[68:69], s[24:25]
	;; [unrolled: 1-line block ×5, first 2 shown]
	v_fma_f64 v[19:20], v[76:77], s[20:21], v[104:105]
	v_fma_f64 v[180:181], v[92:93], s[2:3], -v[126:127]
	v_fma_f64 v[106:107], v[78:79], s[2:3], -v[106:107]
	v_fma_f64 v[126:127], v[92:93], s[2:3], v[126:127]
	v_fma_f64 v[184:185], v[100:101], s[0:1], -v[150:151]
	v_add_f64 v[174:175], v[32:33], v[174:175]
	v_add_f64 v[94:95], v[142:143], v[94:95]
	v_fma_f64 v[142:143], v[25:26], s[0:1], v[156:157]
	v_fma_f64 v[138:139], v[80:81], s[0:1], -v[138:139]
	v_fma_f64 v[150:151], v[100:101], s[0:1], v[150:151]
	v_add_f64 v[110:111], v[34:35], v[110:111]
	v_add_f64 v[46:47], v[86:87], v[46:47]
	;; [unrolled: 1-line block ×6, first 2 shown]
	v_fma_f64 v[172:173], v[100:101], s[6:7], -v[166:167]
	v_add_f64 v[64:65], v[9:10], -v[54:55]
	v_add_f64 v[7:8], v[7:8], v[17:18]
	v_add_f64 v[0:1], v[0:1], v[3:4]
	v_mul_f64 v[132:133], v[58:59], s[22:23]
	v_mul_f64 v[146:147], v[68:69], s[22:23]
	;; [unrolled: 1-line block ×4, first 2 shown]
	v_fma_f64 v[5:6], v[74:75], s[0:1], v[102:103]
	v_fma_f64 v[128:129], v[90:91], s[20:21], -v[124:125]
	v_fma_f64 v[104:105], v[76:77], s[20:21], -v[104:105]
	v_fma_f64 v[124:125], v[90:91], s[20:21], v[124:125]
	v_add_f64 v[88:89], v[170:171], v[94:95]
	v_add_f64 v[94:95], v[32:33], v[136:137]
	v_fma_f64 v[136:137], v[80:81], s[6:7], v[158:159]
	v_add_f64 v[142:143], v[34:35], v[142:143]
	v_fma_f64 v[170:171], v[78:79], s[12:13], v[134:135]
	v_fma_f64 v[182:183], v[92:93], s[12:13], -v[148:149]
	v_fma_f64 v[134:135], v[78:79], s[12:13], -v[134:135]
	v_add_f64 v[174:175], v[184:185], v[174:175]
	v_fma_f64 v[148:149], v[92:93], s[12:13], v[148:149]
	v_add_f64 v[110:111], v[138:139], v[110:111]
	v_add_f64 v[138:139], v[180:181], v[144:145]
	;; [unrolled: 1-line block ×4, first 2 shown]
	v_fma_f64 v[126:127], v[84:85], s[0:1], v[168:169]
	v_fma_f64 v[144:145], v[78:79], s[20:21], v[154:155]
	v_add_f64 v[168:169], v[172:173], v[176:177]
	v_mul_f64 v[130:131], v[56:57], s[24:25]
	v_mul_f64 v[140:141], v[64:65], s[24:25]
	s_mov_b32 s25, 0xbfed1bb4
	v_add_f64 v[7:8], v[7:8], v[15:16]
	v_add_f64 v[0:1], v[0:1], v[13:14]
	;; [unrolled: 1-line block ×5, first 2 shown]
	v_fma_f64 v[156:157], v[25:26], s[0:1], -v[156:157]
	v_add_f64 v[136:137], v[136:137], v[142:143]
	v_add_f64 v[150:151], v[170:171], v[160:161]
	v_fma_f64 v[160:161], v[92:93], s[20:21], -v[164:165]
	v_fma_f64 v[106:107], v[76:77], s[6:7], v[132:133]
	v_fma_f64 v[142:143], v[90:91], s[6:7], -v[146:147]
	v_fma_f64 v[132:133], v[76:77], s[6:7], -v[132:133]
	v_fma_f64 v[146:147], v[90:91], s[6:7], v[146:147]
	v_add_f64 v[17:18], v[182:183], v[174:175]
	v_add_f64 v[110:111], v[134:135], v[110:111]
	v_add_f64 v[104:105], v[104:105], v[46:47]
	v_add_f64 v[86:87], v[124:125], v[86:87]
	v_add_f64 v[124:125], v[32:33], v[126:127]
	v_fma_f64 v[126:127], v[76:77], s[12:13], v[152:153]
	v_mul_f64 v[13:14], v[23:24], s[28:29]
	v_mul_f64 v[15:16], v[23:24], s[24:25]
	v_fma_f64 v[158:159], v[80:81], s[6:7], -v[158:159]
	v_add_f64 v[7:8], v[7:8], v[9:10]
	v_add_f64 v[0:1], v[0:1], v[66:67]
	v_fma_f64 v[94:95], v[74:75], s[20:21], v[130:131]
	v_add_f64 v[46:47], v[5:6], v[19:20]
	v_add_f64 v[5:6], v[148:149], v[88:89]
	v_fma_f64 v[88:89], v[100:101], s[6:7], v[166:167]
	v_add_f64 v[134:135], v[144:145], v[136:137]
	v_mul_f64 v[136:137], v[11:12], s[24:25]
	v_fma_f64 v[144:145], v[90:91], s[12:13], -v[162:163]
	v_add_f64 v[148:149], v[160:161], v[168:169]
	v_mul_f64 v[11:12], v[11:12], s[28:29]
	v_add_f64 v[3:4], v[34:35], v[156:157]
	v_add_f64 v[106:107], v[106:107], v[150:151]
	v_fma_f64 v[150:151], v[82:83], s[20:21], -v[140:141]
	v_add_f64 v[17:18], v[142:143], v[17:18]
	v_add_f64 v[110:111], v[132:133], v[110:111]
	v_fma_f64 v[132:133], v[82:83], s[20:21], v[140:141]
	v_fma_f64 v[140:141], v[92:93], s[20:21], v[164:165]
	v_fma_f64 v[23:24], v[74:75], s[20:21], -v[130:131]
	v_fma_f64 v[9:10], v[84:85], s[12:13], v[13:14]
	v_fma_f64 v[66:67], v[84:85], s[20:21], v[15:16]
	v_fma_f64 v[15:16], v[84:85], s[20:21], -v[15:16]
	v_fma_f64 v[13:14], v[84:85], s[12:13], -v[13:14]
	v_add_f64 v[7:8], v[7:8], v[54:55]
	v_add_f64 v[0:1], v[0:1], v[62:63]
	v_mul_f64 v[84:85], v[60:61], s[30:31]
	v_add_f64 v[5:6], v[146:147], v[5:6]
	v_add_f64 v[88:89], v[88:89], v[124:125]
	;; [unrolled: 1-line block ×3, first 2 shown]
	v_mul_f64 v[134:135], v[21:22], s[18:19]
	v_fma_f64 v[142:143], v[25:26], s[20:21], -v[136:137]
	v_mul_f64 v[146:147], v[72:73], s[18:19]
	v_add_f64 v[144:145], v[144:145], v[148:149]
	v_mul_f64 v[21:22], v[21:22], s[24:25]
	v_fma_f64 v[148:149], v[25:26], s[12:13], -v[11:12]
	v_mul_f64 v[72:73], v[72:73], s[24:25]
	v_fma_f64 v[136:137], v[25:26], s[20:21], v[136:137]
	v_fma_f64 v[11:12], v[25:26], s[12:13], v[11:12]
	v_add_f64 v[3:4], v[158:159], v[3:4]
	v_mul_f64 v[60:61], v[60:61], s[16:17]
	v_fma_f64 v[130:131], v[78:79], s[20:21], -v[154:155]
	v_add_f64 v[9:10], v[32:33], v[9:10]
	v_add_f64 v[54:55], v[32:33], v[66:67]
	;; [unrolled: 1-line block ×6, first 2 shown]
	v_mul_f64 v[32:33], v[58:59], s[26:27]
	v_mul_f64 v[58:59], v[58:59], s[18:19]
	v_add_f64 v[25:26], v[140:141], v[88:89]
	v_mul_f64 v[88:89], v[70:71], s[30:31]
	v_fma_f64 v[140:141], v[80:81], s[2:3], -v[134:135]
	v_add_f64 v[142:143], v[34:35], v[142:143]
	v_mul_f64 v[70:71], v[70:71], s[16:17]
	v_fma_f64 v[156:157], v[100:101], s[2:3], v[146:147]
	v_fma_f64 v[158:159], v[80:81], s[20:21], -v[21:22]
	v_add_f64 v[148:149], v[34:35], v[148:149]
	v_fma_f64 v[160:161], v[100:101], s[20:21], v[72:73]
	v_fma_f64 v[62:63], v[80:81], s[2:3], v[134:135]
	v_add_f64 v[66:67], v[34:35], v[136:137]
	v_fma_f64 v[134:135], v[100:101], s[2:3], -v[146:147]
	v_fma_f64 v[21:22], v[80:81], s[20:21], v[21:22]
	v_add_f64 v[11:12], v[34:35], v[11:12]
	v_fma_f64 v[34:35], v[100:101], s[20:21], -v[72:73]
	v_mul_f64 v[72:73], v[68:69], s[26:27]
	v_fma_f64 v[80:81], v[78:79], s[6:7], -v[84:85]
	v_mul_f64 v[68:69], v[68:69], s[18:19]
	v_fma_f64 v[52:53], v[78:79], s[6:7], v[84:85]
	v_add_f64 v[7:8], v[7:8], v[42:43]
	v_add_f64 v[0:1], v[0:1], v[48:49]
	v_mul_f64 v[108:109], v[64:65], s[16:17]
	v_add_f64 v[128:129], v[128:129], v[138:139]
	v_fma_f64 v[136:137], v[92:93], s[6:7], v[88:89]
	v_mul_f64 v[19:20], v[56:57], s[18:19]
	v_add_f64 v[100:101], v[140:141], v[142:143]
	v_fma_f64 v[140:141], v[78:79], s[0:1], -v[60:61]
	v_fma_f64 v[146:147], v[92:93], s[0:1], v[70:71]
	v_add_f64 v[50:51], v[156:157], v[54:55]
	v_add_f64 v[142:143], v[158:159], v[148:149]
	;; [unrolled: 1-line block ×3, first 2 shown]
	v_fma_f64 v[60:61], v[78:79], s[0:1], v[60:61]
	v_add_f64 v[54:55], v[62:63], v[66:67]
	v_fma_f64 v[62:63], v[92:93], s[6:7], -v[88:89]
	v_add_f64 v[15:16], v[134:135], v[15:16]
	v_add_f64 v[11:12], v[21:22], v[11:12]
	v_fma_f64 v[21:22], v[92:93], s[0:1], -v[70:71]
	v_add_f64 v[13:14], v[34:35], v[13:14]
	v_mul_f64 v[138:139], v[64:65], s[18:19]
	v_mul_f64 v[34:35], v[56:57], s[14:15]
	;; [unrolled: 1-line block ×3, first 2 shown]
	v_fma_f64 v[70:71], v[76:77], s[0:1], -v[32:33]
	v_mul_f64 v[56:57], v[56:57], s[22:23]
	v_mul_f64 v[64:65], v[64:65], s[22:23]
	v_fma_f64 v[84:85], v[76:77], s[2:3], -v[58:59]
	v_fma_f64 v[92:93], v[90:91], s[2:3], v[68:69]
	v_fma_f64 v[152:153], v[76:77], s[12:13], -v[152:153]
	v_add_f64 v[78:79], v[80:81], v[100:101]
	v_fma_f64 v[80:81], v[90:91], s[0:1], v[72:73]
	v_add_f64 v[3:4], v[130:131], v[3:4]
	v_add_f64 v[42:43], v[136:137], v[50:51]
	;; [unrolled: 1-line block ×4, first 2 shown]
	v_fma_f64 v[130:131], v[90:91], s[12:13], v[162:163]
	v_fma_f64 v[32:33], v[76:77], s[0:1], v[32:33]
	v_add_f64 v[48:49], v[52:53], v[54:55]
	v_fma_f64 v[50:51], v[90:91], s[0:1], -v[72:73]
	v_add_f64 v[15:16], v[62:63], v[15:16]
	v_fma_f64 v[52:53], v[76:77], s[2:3], v[58:59]
	v_add_f64 v[11:12], v[60:61], v[11:12]
	v_fma_f64 v[54:55], v[90:91], s[2:3], -v[68:69]
	v_add_f64 v[13:14], v[21:22], v[13:14]
	v_add_f64 v[7:8], v[7:8], v[40:41]
	;; [unrolled: 1-line block ×3, first 2 shown]
	v_fma_f64 v[58:59], v[74:75], s[12:13], -v[34:35]
	v_fma_f64 v[62:63], v[74:75], s[6:7], -v[56:57]
	v_fma_f64 v[72:73], v[82:83], s[6:7], v[64:65]
	v_fma_f64 v[68:69], v[82:83], s[12:13], v[66:67]
	v_fma_f64 v[124:125], v[74:75], s[2:3], v[19:20]
	v_add_f64 v[60:61], v[70:71], v[78:79]
	v_fma_f64 v[19:20], v[74:75], s[2:3], -v[19:20]
	v_add_f64 v[3:4], v[152:153], v[3:4]
	v_add_f64 v[76:77], v[80:81], v[42:43]
	;; [unrolled: 1-line block ×4, first 2 shown]
	v_fma_f64 v[21:22], v[82:83], s[2:3], v[138:139]
	v_add_f64 v[25:26], v[130:131], v[25:26]
	v_fma_f64 v[178:179], v[82:83], s[0:1], -v[108:109]
	v_fma_f64 v[102:103], v[74:75], s[0:1], -v[102:103]
	v_fma_f64 v[108:109], v[82:83], s[0:1], v[108:109]
	v_fma_f64 v[154:155], v[82:83], s[2:3], -v[138:139]
	v_fma_f64 v[78:79], v[74:75], s[12:13], v[34:35]
	v_add_f64 v[80:81], v[32:33], v[48:49]
	v_fma_f64 v[84:85], v[82:83], s[12:13], -v[66:67]
	v_add_f64 v[15:16], v[50:51], v[15:16]
	v_fma_f64 v[74:75], v[74:75], s[6:7], v[56:57]
	v_add_f64 v[11:12], v[52:53], v[11:12]
	v_fma_f64 v[82:83], v[82:83], s[6:7], -v[64:65]
	v_add_f64 v[13:14], v[54:55], v[13:14]
	v_add_f64 v[38:39], v[7:8], v[38:39]
	;; [unrolled: 1-line block ×4, first 2 shown]
	v_lshrrev_b32_e32 v0, 6, v27
	v_add_f64 v[54:55], v[19:20], v[3:4]
	v_add_f64 v[56:57], v[68:69], v[76:77]
	;; [unrolled: 1-line block ×12, first 2 shown]
	v_mul_u32_u24_e32 v0, 0x2c0, v0
	v_and_b32_e32 v1, 63, v27
	v_add_f64 v[66:67], v[124:125], v[126:127]
	v_add_f64 v[64:65], v[154:155], v[144:145]
	;; [unrolled: 1-line block ×6, first 2 shown]
	v_or_b32_e32 v0, v0, v1
	v_lshlrev_b32_e32 v0, 4, v0
	ds_write_b128 v0, v[36:39]
	ds_write_b128 v0, v[60:63] offset:1024
	ds_write_b128 v0, v[56:59] offset:2048
	ds_write_b128 v0, v[52:55] offset:3072
	ds_write_b128 v0, v[48:51] offset:4096
	ds_write_b128 v0, v[32:35] offset:5120
	ds_write_b128 v0, v[44:47] offset:6144
	ds_write_b128 v0, v[40:43] offset:7168
	ds_write_b128 v0, v[64:67] offset:8192
	ds_write_b128 v0, v[68:71] offset:9216
	ds_write_b128 v0, v[72:75] offset:10240
.LBB0_9:
	s_or_b32 exec_lo, exec_lo, s33
	s_waitcnt lgkmcnt(0)
	s_barrier
	buffer_gl0_inv
	ds_read_b128 v[32:35], v2 offset:11264
	ds_read_b128 v[36:39], v2 offset:14080
	;; [unrolled: 1-line block ×4, first 2 shown]
	ds_read_b128 v[48:51], v2
	ds_read_b128 v[52:55], v2 offset:2816
	s_mul_i32 s1, s9, 0x2c00
	s_mul_hi_u32 s2, s8, 0x2c00
	s_mul_i32 s0, s8, 0x2c00
	s_add_i32 s1, s2, s1
	s_mul_hi_u32 s6, s8, 0xffffdf00
	s_mul_i32 s3, s9, 0xffffdf00
	s_mul_i32 s7, s8, 0xffffdf00
	s_sub_i32 s2, s6, s8
	s_waitcnt lgkmcnt(5)
	v_mul_f64 v[0:1], v[98:99], v[34:35]
	v_mul_f64 v[3:4], v[98:99], v[32:33]
	s_waitcnt lgkmcnt(4)
	v_mul_f64 v[5:6], v[122:123], v[38:39]
	v_mul_f64 v[7:8], v[122:123], v[36:37]
	s_waitcnt lgkmcnt(3)
	v_mul_f64 v[9:10], v[114:115], v[42:43]
	v_mul_f64 v[11:12], v[114:115], v[40:41]
	s_waitcnt lgkmcnt(2)
	v_mul_f64 v[13:14], v[118:119], v[46:47]
	v_mul_f64 v[15:16], v[118:119], v[44:45]
	v_fma_f64 v[0:1], v[96:97], v[32:33], v[0:1]
	v_fma_f64 v[3:4], v[96:97], v[34:35], -v[3:4]
	v_fma_f64 v[5:6], v[120:121], v[36:37], v[5:6]
	v_fma_f64 v[7:8], v[120:121], v[38:39], -v[7:8]
	v_fma_f64 v[9:10], v[112:113], v[40:41], v[9:10]
	ds_read_b128 v[32:35], v2 offset:5632
	ds_read_b128 v[36:39], v2 offset:8448
	v_fma_f64 v[11:12], v[112:113], v[42:43], -v[11:12]
	v_fma_f64 v[13:14], v[116:117], v[44:45], v[13:14]
	v_fma_f64 v[15:16], v[116:117], v[46:47], -v[15:16]
	s_waitcnt lgkmcnt(3)
	v_add_f64 v[40:41], v[48:49], -v[0:1]
	s_clause 0x1
	buffer_load_dword v0, off, s[40:43], 0 offset:16
	buffer_load_dword v1, off, s[40:43], 0 offset:20
	v_add_f64 v[42:43], v[50:51], -v[3:4]
	s_waitcnt lgkmcnt(2)
	v_add_f64 v[44:45], v[52:53], -v[5:6]
	v_add_f64 v[46:47], v[54:55], -v[7:8]
	s_waitcnt lgkmcnt(1)
	v_add_f64 v[56:57], v[32:33], -v[9:10]
	v_mad_u64_u32 v[3:4], null, s8, v27, 0
	v_add_f64 v[58:59], v[34:35], -v[11:12]
	s_waitcnt lgkmcnt(0)
	v_add_f64 v[60:61], v[36:37], -v[13:14]
	v_add_f64 v[62:63], v[38:39], -v[15:16]
	v_fma_f64 v[48:49], v[48:49], 2.0, -v[40:41]
	v_fma_f64 v[50:51], v[50:51], 2.0, -v[42:43]
	;; [unrolled: 1-line block ×8, first 2 shown]
	ds_write_b128 v2, v[40:43] offset:11264
	ds_write_b128 v2, v[44:47] offset:14080
	;; [unrolled: 1-line block ×4, first 2 shown]
	ds_write_b128 v2, v[48:51]
	ds_write_b128 v2, v[52:55] offset:2816
	ds_write_b128 v2, v[32:35] offset:5632
	;; [unrolled: 1-line block ×3, first 2 shown]
	s_waitcnt vmcnt(0) lgkmcnt(0)
	s_barrier
	buffer_gl0_inv
	ds_read_b128 v[32:35], v2 offset:11264
	ds_read_b128 v[36:39], v2
	ds_read_b128 v[40:43], v2 offset:2816
	ds_read_b128 v[44:47], v2 offset:14080
	;; [unrolled: 1-line block ×5, first 2 shown]
	v_mov_b32_e32 v5, v0
	v_mad_u64_u32 v[0:1], null, s10, v5, 0
	v_mad_u64_u32 v[5:6], null, s11, v5, v[1:2]
	;; [unrolled: 1-line block ×3, first 2 shown]
	v_mov_b32_e32 v1, v5
	v_lshlrev_b64 v[0:1], 4, v[0:1]
	v_mov_b32_e32 v4, v6
	v_lshlrev_b64 v[3:4], 4, v[3:4]
	v_add_co_u32 v0, vcc_lo, s4, v0
	v_add_co_ci_u32_e32 v1, vcc_lo, s5, v1, vcc_lo
	s_add_i32 s4, s2, s3
	v_add_co_u32 v60, vcc_lo, v0, v3
	v_add_co_ci_u32_e32 v61, vcc_lo, v1, v4, vcc_lo
	ds_read_b128 v[0:3], v2 offset:19712
	s_clause 0x7
	buffer_load_dword v74, off, s[40:43], 0
	buffer_load_dword v75, off, s[40:43], 0 offset:4
	buffer_load_dword v76, off, s[40:43], 0 offset:8
	buffer_load_dword v77, off, s[40:43], 0 offset:12
	buffer_load_dword v84, off, s[40:43], 0 offset:56
	buffer_load_dword v85, off, s[40:43], 0 offset:60
	buffer_load_dword v86, off, s[40:43], 0 offset:64
	buffer_load_dword v87, off, s[40:43], 0 offset:68
	v_add_co_u32 v62, vcc_lo, v60, s0
	v_add_co_ci_u32_e32 v63, vcc_lo, s1, v61, vcc_lo
	s_mov_b32 s2, 0x745d1746
	v_add_co_u32 v70, vcc_lo, v62, s7
	v_add_co_ci_u32_e32 v71, vcc_lo, s4, v63, vcc_lo
	s_mov_b32 s3, 0x3f4745d1
	v_add_co_u32 v72, vcc_lo, v70, s0
	v_add_co_ci_u32_e32 v73, vcc_lo, s1, v71, vcc_lo
	s_waitcnt lgkmcnt(0)
	v_mul_f64 v[68:69], v[30:31], v[2:3]
	v_mul_f64 v[30:31], v[30:31], v[0:1]
	v_fma_f64 v[30:31], v[28:29], v[2:3], -v[30:31]
	v_mul_f64 v[30:31], v[30:31], s[2:3]
	s_waitcnt vmcnt(4)
	v_mul_f64 v[4:5], v[76:77], v[38:39]
	s_waitcnt vmcnt(0)
	v_mul_f64 v[8:9], v[86:87], v[34:35]
	v_mul_f64 v[10:11], v[86:87], v[32:33]
	s_clause 0x3
	buffer_load_dword v86, off, s[40:43], 0 offset:72
	buffer_load_dword v87, off, s[40:43], 0 offset:76
	;; [unrolled: 1-line block ×4, first 2 shown]
	v_mul_f64 v[6:7], v[76:77], v[36:37]
	s_clause 0x7
	buffer_load_dword v80, off, s[40:43], 0 offset:40
	buffer_load_dword v81, off, s[40:43], 0 offset:44
	;; [unrolled: 1-line block ×8, first 2 shown]
	v_fma_f64 v[4:5], v[74:75], v[36:37], v[4:5]
	v_fma_f64 v[8:9], v[84:85], v[32:33], v[8:9]
	v_fma_f64 v[10:11], v[84:85], v[34:35], -v[10:11]
	v_fma_f64 v[36:37], v[28:29], v[0:1], v[68:69]
	v_fma_f64 v[6:7], v[74:75], v[38:39], -v[6:7]
	v_add_co_u32 v38, vcc_lo, v72, s7
	v_add_co_ci_u32_e32 v39, vcc_lo, s4, v73, vcc_lo
	v_mul_f64 v[0:1], v[4:5], s[2:3]
	v_mul_f64 v[4:5], v[8:9], s[2:3]
	;; [unrolled: 1-line block ×5, first 2 shown]
	s_waitcnt vmcnt(8)
	v_mul_f64 v[12:13], v[88:89], v[42:43]
	v_mul_f64 v[14:15], v[88:89], v[40:41]
	s_clause 0x3
	buffer_load_dword v88, off, s[40:43], 0 offset:88
	buffer_load_dword v89, off, s[40:43], 0 offset:92
	;; [unrolled: 1-line block ×4, first 2 shown]
	s_waitcnt vmcnt(8)
	v_mul_f64 v[16:17], v[82:83], v[46:47]
	v_mul_f64 v[18:19], v[82:83], v[44:45]
	s_waitcnt vmcnt(4)
	v_mul_f64 v[20:21], v[78:79], v[54:55]
	v_mul_f64 v[22:23], v[78:79], v[52:53]
	v_fma_f64 v[12:13], v[86:87], v[40:41], v[12:13]
	v_fma_f64 v[14:15], v[86:87], v[42:43], -v[14:15]
	v_fma_f64 v[16:17], v[80:81], v[44:45], v[16:17]
	v_fma_f64 v[18:19], v[80:81], v[46:47], -v[18:19]
	;; [unrolled: 2-line block ×3, first 2 shown]
	v_mul_f64 v[8:9], v[12:13], s[2:3]
	v_mul_f64 v[10:11], v[14:15], s[2:3]
	;; [unrolled: 1-line block ×6, first 2 shown]
	s_waitcnt vmcnt(0)
	v_mul_f64 v[24:25], v[90:91], v[50:51]
	v_mul_f64 v[26:27], v[90:91], v[48:49]
	s_clause 0x3
	buffer_load_dword v90, off, s[40:43], 0 offset:104
	buffer_load_dword v91, off, s[40:43], 0 offset:108
	;; [unrolled: 1-line block ×4, first 2 shown]
	v_fma_f64 v[24:25], v[88:89], v[48:49], v[24:25]
	v_fma_f64 v[26:27], v[88:89], v[50:51], -v[26:27]
	v_mul_f64 v[20:21], v[24:25], s[2:3]
	v_mul_f64 v[22:23], v[26:27], s[2:3]
	s_waitcnt vmcnt(0)
	v_mul_f64 v[64:65], v[92:93], v[58:59]
	v_mul_f64 v[66:67], v[92:93], v[56:57]
	v_fma_f64 v[32:33], v[90:91], v[56:57], v[64:65]
	v_fma_f64 v[34:35], v[90:91], v[58:59], -v[66:67]
	v_mul_f64 v[24:25], v[32:33], s[2:3]
	v_mul_f64 v[26:27], v[34:35], s[2:3]
	v_add_co_u32 v32, vcc_lo, v38, s0
	v_add_co_ci_u32_e32 v33, vcc_lo, s1, v39, vcc_lo
	v_add_co_u32 v34, vcc_lo, v32, s7
	v_add_co_ci_u32_e32 v35, vcc_lo, s4, v33, vcc_lo
	;; [unrolled: 2-line block ×3, first 2 shown]
	global_store_dwordx4 v[60:61], v[0:3], off
	global_store_dwordx4 v[62:63], v[4:7], off
	;; [unrolled: 1-line block ×8, first 2 shown]
.LBB0_10:
	s_endpgm
	.section	.rodata,"a",@progbits
	.p2align	6, 0x0
	.amdhsa_kernel bluestein_single_fwd_len1408_dim1_dp_op_CI_CI
		.amdhsa_group_segment_fixed_size 22528
		.amdhsa_private_segment_fixed_size 216
		.amdhsa_kernarg_size 104
		.amdhsa_user_sgpr_count 6
		.amdhsa_user_sgpr_private_segment_buffer 1
		.amdhsa_user_sgpr_dispatch_ptr 0
		.amdhsa_user_sgpr_queue_ptr 0
		.amdhsa_user_sgpr_kernarg_segment_ptr 1
		.amdhsa_user_sgpr_dispatch_id 0
		.amdhsa_user_sgpr_flat_scratch_init 0
		.amdhsa_user_sgpr_private_segment_size 0
		.amdhsa_wavefront_size32 1
		.amdhsa_uses_dynamic_stack 0
		.amdhsa_system_sgpr_private_segment_wavefront_offset 1
		.amdhsa_system_sgpr_workgroup_id_x 1
		.amdhsa_system_sgpr_workgroup_id_y 0
		.amdhsa_system_sgpr_workgroup_id_z 0
		.amdhsa_system_sgpr_workgroup_info 0
		.amdhsa_system_vgpr_workitem_id 0
		.amdhsa_next_free_vgpr 256
		.amdhsa_next_free_sgpr 44
		.amdhsa_reserve_vcc 1
		.amdhsa_reserve_flat_scratch 0
		.amdhsa_float_round_mode_32 0
		.amdhsa_float_round_mode_16_64 0
		.amdhsa_float_denorm_mode_32 3
		.amdhsa_float_denorm_mode_16_64 3
		.amdhsa_dx10_clamp 1
		.amdhsa_ieee_mode 1
		.amdhsa_fp16_overflow 0
		.amdhsa_workgroup_processor_mode 1
		.amdhsa_memory_ordered 1
		.amdhsa_forward_progress 0
		.amdhsa_shared_vgpr_count 0
		.amdhsa_exception_fp_ieee_invalid_op 0
		.amdhsa_exception_fp_denorm_src 0
		.amdhsa_exception_fp_ieee_div_zero 0
		.amdhsa_exception_fp_ieee_overflow 0
		.amdhsa_exception_fp_ieee_underflow 0
		.amdhsa_exception_fp_ieee_inexact 0
		.amdhsa_exception_int_div_zero 0
	.end_amdhsa_kernel
	.text
.Lfunc_end0:
	.size	bluestein_single_fwd_len1408_dim1_dp_op_CI_CI, .Lfunc_end0-bluestein_single_fwd_len1408_dim1_dp_op_CI_CI
                                        ; -- End function
	.section	.AMDGPU.csdata,"",@progbits
; Kernel info:
; codeLenInByte = 16456
; NumSgprs: 46
; NumVgprs: 256
; ScratchSize: 216
; MemoryBound: 0
; FloatMode: 240
; IeeeMode: 1
; LDSByteSize: 22528 bytes/workgroup (compile time only)
; SGPRBlocks: 5
; VGPRBlocks: 31
; NumSGPRsForWavesPerEU: 46
; NumVGPRsForWavesPerEU: 256
; Occupancy: 4
; WaveLimiterHint : 1
; COMPUTE_PGM_RSRC2:SCRATCH_EN: 1
; COMPUTE_PGM_RSRC2:USER_SGPR: 6
; COMPUTE_PGM_RSRC2:TRAP_HANDLER: 0
; COMPUTE_PGM_RSRC2:TGID_X_EN: 1
; COMPUTE_PGM_RSRC2:TGID_Y_EN: 0
; COMPUTE_PGM_RSRC2:TGID_Z_EN: 0
; COMPUTE_PGM_RSRC2:TIDIG_COMP_CNT: 0
	.text
	.p2alignl 6, 3214868480
	.fill 48, 4, 3214868480
	.type	__hip_cuid_f0bc68fbb6ac00a8,@object ; @__hip_cuid_f0bc68fbb6ac00a8
	.section	.bss,"aw",@nobits
	.globl	__hip_cuid_f0bc68fbb6ac00a8
__hip_cuid_f0bc68fbb6ac00a8:
	.byte	0                               ; 0x0
	.size	__hip_cuid_f0bc68fbb6ac00a8, 1

	.ident	"AMD clang version 19.0.0git (https://github.com/RadeonOpenCompute/llvm-project roc-6.4.0 25133 c7fe45cf4b819c5991fe208aaa96edf142730f1d)"
	.section	".note.GNU-stack","",@progbits
	.addrsig
	.addrsig_sym __hip_cuid_f0bc68fbb6ac00a8
	.amdgpu_metadata
---
amdhsa.kernels:
  - .args:
      - .actual_access:  read_only
        .address_space:  global
        .offset:         0
        .size:           8
        .value_kind:     global_buffer
      - .actual_access:  read_only
        .address_space:  global
        .offset:         8
        .size:           8
        .value_kind:     global_buffer
      - .actual_access:  read_only
        .address_space:  global
        .offset:         16
        .size:           8
        .value_kind:     global_buffer
      - .actual_access:  read_only
        .address_space:  global
        .offset:         24
        .size:           8
        .value_kind:     global_buffer
      - .actual_access:  read_only
        .address_space:  global
        .offset:         32
        .size:           8
        .value_kind:     global_buffer
      - .offset:         40
        .size:           8
        .value_kind:     by_value
      - .address_space:  global
        .offset:         48
        .size:           8
        .value_kind:     global_buffer
      - .address_space:  global
        .offset:         56
        .size:           8
        .value_kind:     global_buffer
      - .address_space:  global
        .offset:         64
        .size:           8
        .value_kind:     global_buffer
      - .address_space:  global
        .offset:         72
        .size:           8
        .value_kind:     global_buffer
      - .offset:         80
        .size:           4
        .value_kind:     by_value
      - .address_space:  global
        .offset:         88
        .size:           8
        .value_kind:     global_buffer
      - .address_space:  global
        .offset:         96
        .size:           8
        .value_kind:     global_buffer
    .group_segment_fixed_size: 22528
    .kernarg_segment_align: 8
    .kernarg_segment_size: 104
    .language:       OpenCL C
    .language_version:
      - 2
      - 0
    .max_flat_workgroup_size: 176
    .name:           bluestein_single_fwd_len1408_dim1_dp_op_CI_CI
    .private_segment_fixed_size: 216
    .sgpr_count:     46
    .sgpr_spill_count: 0
    .symbol:         bluestein_single_fwd_len1408_dim1_dp_op_CI_CI.kd
    .uniform_work_group_size: 1
    .uses_dynamic_stack: false
    .vgpr_count:     256
    .vgpr_spill_count: 53
    .wavefront_size: 32
    .workgroup_processor_mode: 1
amdhsa.target:   amdgcn-amd-amdhsa--gfx1030
amdhsa.version:
  - 1
  - 2
...

	.end_amdgpu_metadata
